;; amdgpu-corpus repo=ROCm/rocFFT kind=compiled arch=gfx1201 opt=O3
	.text
	.amdgcn_target "amdgcn-amd-amdhsa--gfx1201"
	.amdhsa_code_object_version 6
	.protected	fft_rtc_fwd_len1008_factors_2_2_2_2_3_3_7_wgs_56_tpt_56_halfLds_dp_ip_CI_sbrr_dirReg ; -- Begin function fft_rtc_fwd_len1008_factors_2_2_2_2_3_3_7_wgs_56_tpt_56_halfLds_dp_ip_CI_sbrr_dirReg
	.globl	fft_rtc_fwd_len1008_factors_2_2_2_2_3_3_7_wgs_56_tpt_56_halfLds_dp_ip_CI_sbrr_dirReg
	.p2align	8
	.type	fft_rtc_fwd_len1008_factors_2_2_2_2_3_3_7_wgs_56_tpt_56_halfLds_dp_ip_CI_sbrr_dirReg,@function
fft_rtc_fwd_len1008_factors_2_2_2_2_3_3_7_wgs_56_tpt_56_halfLds_dp_ip_CI_sbrr_dirReg: ; @fft_rtc_fwd_len1008_factors_2_2_2_2_3_3_7_wgs_56_tpt_56_halfLds_dp_ip_CI_sbrr_dirReg
; %bb.0:
	s_clause 0x2
	s_load_b64 s[12:13], s[0:1], 0x18
	s_load_b128 s[4:7], s[0:1], 0x0
	s_load_b64 s[10:11], s[0:1], 0x50
	v_mul_u32_u24_e32 v1, 0x493, v0
	v_mov_b32_e32 v3, 0
	s_delay_alu instid0(VALU_DEP_2) | instskip(NEXT) | instid1(VALU_DEP_1)
	v_lshrrev_b32_e32 v1, 16, v1
	v_add_nc_u32_e32 v5, ttmp9, v1
	v_mov_b32_e32 v1, 0
	v_mov_b32_e32 v2, 0
	;; [unrolled: 1-line block ×3, first 2 shown]
	s_wait_kmcnt 0x0
	s_load_b64 s[8:9], s[12:13], 0x0
	v_cmp_lt_u64_e64 s2, s[6:7], 2
	s_delay_alu instid0(VALU_DEP_1)
	s_and_b32 vcc_lo, exec_lo, s2
	s_cbranch_vccnz .LBB0_8
; %bb.1:
	s_load_b64 s[2:3], s[0:1], 0x10
	v_mov_b32_e32 v1, 0
	v_mov_b32_e32 v2, 0
	s_add_nc_u64 s[14:15], s[12:13], 8
	s_mov_b64 s[16:17], 1
	s_wait_kmcnt 0x0
	s_add_nc_u64 s[18:19], s[2:3], 8
	s_mov_b32 s3, 0
.LBB0_2:                                ; =>This Inner Loop Header: Depth=1
	s_load_b64 s[20:21], s[18:19], 0x0
                                        ; implicit-def: $vgpr7_vgpr8
	s_mov_b32 s2, exec_lo
	s_wait_kmcnt 0x0
	v_or_b32_e32 v4, s21, v6
	s_delay_alu instid0(VALU_DEP_1)
	v_cmpx_ne_u64_e32 0, v[3:4]
	s_wait_alu 0xfffe
	s_xor_b32 s22, exec_lo, s2
	s_cbranch_execz .LBB0_4
; %bb.3:                                ;   in Loop: Header=BB0_2 Depth=1
	s_cvt_f32_u32 s2, s20
	s_cvt_f32_u32 s23, s21
	s_sub_nc_u64 s[26:27], 0, s[20:21]
	s_wait_alu 0xfffe
	s_delay_alu instid0(SALU_CYCLE_1) | instskip(SKIP_1) | instid1(SALU_CYCLE_2)
	s_fmamk_f32 s2, s23, 0x4f800000, s2
	s_wait_alu 0xfffe
	v_s_rcp_f32 s2, s2
	s_delay_alu instid0(TRANS32_DEP_1) | instskip(SKIP_1) | instid1(SALU_CYCLE_2)
	s_mul_f32 s2, s2, 0x5f7ffffc
	s_wait_alu 0xfffe
	s_mul_f32 s23, s2, 0x2f800000
	s_wait_alu 0xfffe
	s_delay_alu instid0(SALU_CYCLE_2) | instskip(SKIP_1) | instid1(SALU_CYCLE_2)
	s_trunc_f32 s23, s23
	s_wait_alu 0xfffe
	s_fmamk_f32 s2, s23, 0xcf800000, s2
	s_cvt_u32_f32 s25, s23
	s_wait_alu 0xfffe
	s_delay_alu instid0(SALU_CYCLE_1) | instskip(SKIP_1) | instid1(SALU_CYCLE_2)
	s_cvt_u32_f32 s24, s2
	s_wait_alu 0xfffe
	s_mul_u64 s[28:29], s[26:27], s[24:25]
	s_wait_alu 0xfffe
	s_mul_hi_u32 s31, s24, s29
	s_mul_i32 s30, s24, s29
	s_mul_hi_u32 s2, s24, s28
	s_mul_i32 s33, s25, s28
	s_wait_alu 0xfffe
	s_add_nc_u64 s[30:31], s[2:3], s[30:31]
	s_mul_hi_u32 s23, s25, s28
	s_mul_hi_u32 s34, s25, s29
	s_add_co_u32 s2, s30, s33
	s_wait_alu 0xfffe
	s_add_co_ci_u32 s2, s31, s23
	s_mul_i32 s28, s25, s29
	s_add_co_ci_u32 s29, s34, 0
	s_wait_alu 0xfffe
	s_add_nc_u64 s[28:29], s[2:3], s[28:29]
	s_wait_alu 0xfffe
	v_add_co_u32 v4, s2, s24, s28
	s_delay_alu instid0(VALU_DEP_1) | instskip(SKIP_1) | instid1(VALU_DEP_1)
	s_cmp_lg_u32 s2, 0
	s_add_co_ci_u32 s25, s25, s29
	v_readfirstlane_b32 s24, v4
	s_wait_alu 0xfffe
	s_delay_alu instid0(VALU_DEP_1)
	s_mul_u64 s[26:27], s[26:27], s[24:25]
	s_wait_alu 0xfffe
	s_mul_hi_u32 s29, s24, s27
	s_mul_i32 s28, s24, s27
	s_mul_hi_u32 s2, s24, s26
	s_mul_i32 s30, s25, s26
	s_wait_alu 0xfffe
	s_add_nc_u64 s[28:29], s[2:3], s[28:29]
	s_mul_hi_u32 s23, s25, s26
	s_mul_hi_u32 s24, s25, s27
	s_wait_alu 0xfffe
	s_add_co_u32 s2, s28, s30
	s_add_co_ci_u32 s2, s29, s23
	s_mul_i32 s26, s25, s27
	s_add_co_ci_u32 s27, s24, 0
	s_wait_alu 0xfffe
	s_add_nc_u64 s[26:27], s[2:3], s[26:27]
	s_wait_alu 0xfffe
	v_add_co_u32 v4, s2, v4, s26
	s_delay_alu instid0(VALU_DEP_1) | instskip(SKIP_1) | instid1(VALU_DEP_1)
	s_cmp_lg_u32 s2, 0
	s_add_co_ci_u32 s2, s25, s27
	v_mul_hi_u32 v13, v5, v4
	s_wait_alu 0xfffe
	v_mad_co_u64_u32 v[7:8], null, v5, s2, 0
	v_mad_co_u64_u32 v[9:10], null, v6, v4, 0
	;; [unrolled: 1-line block ×3, first 2 shown]
	s_delay_alu instid0(VALU_DEP_3) | instskip(SKIP_1) | instid1(VALU_DEP_4)
	v_add_co_u32 v4, vcc_lo, v13, v7
	s_wait_alu 0xfffd
	v_add_co_ci_u32_e32 v7, vcc_lo, 0, v8, vcc_lo
	s_delay_alu instid0(VALU_DEP_2) | instskip(SKIP_1) | instid1(VALU_DEP_2)
	v_add_co_u32 v4, vcc_lo, v4, v9
	s_wait_alu 0xfffd
	v_add_co_ci_u32_e32 v4, vcc_lo, v7, v10, vcc_lo
	s_wait_alu 0xfffd
	v_add_co_ci_u32_e32 v7, vcc_lo, 0, v12, vcc_lo
	s_delay_alu instid0(VALU_DEP_2) | instskip(SKIP_1) | instid1(VALU_DEP_2)
	v_add_co_u32 v4, vcc_lo, v4, v11
	s_wait_alu 0xfffd
	v_add_co_ci_u32_e32 v9, vcc_lo, 0, v7, vcc_lo
	s_delay_alu instid0(VALU_DEP_2) | instskip(SKIP_1) | instid1(VALU_DEP_3)
	v_mul_lo_u32 v10, s21, v4
	v_mad_co_u64_u32 v[7:8], null, s20, v4, 0
	v_mul_lo_u32 v11, s20, v9
	s_delay_alu instid0(VALU_DEP_2) | instskip(NEXT) | instid1(VALU_DEP_2)
	v_sub_co_u32 v7, vcc_lo, v5, v7
	v_add3_u32 v8, v8, v11, v10
	s_delay_alu instid0(VALU_DEP_1) | instskip(SKIP_1) | instid1(VALU_DEP_1)
	v_sub_nc_u32_e32 v10, v6, v8
	s_wait_alu 0xfffd
	v_subrev_co_ci_u32_e64 v10, s2, s21, v10, vcc_lo
	v_add_co_u32 v11, s2, v4, 2
	s_wait_alu 0xf1ff
	v_add_co_ci_u32_e64 v12, s2, 0, v9, s2
	v_sub_co_u32 v13, s2, v7, s20
	v_sub_co_ci_u32_e32 v8, vcc_lo, v6, v8, vcc_lo
	s_wait_alu 0xf1ff
	v_subrev_co_ci_u32_e64 v10, s2, 0, v10, s2
	s_delay_alu instid0(VALU_DEP_3) | instskip(NEXT) | instid1(VALU_DEP_3)
	v_cmp_le_u32_e32 vcc_lo, s20, v13
	v_cmp_eq_u32_e64 s2, s21, v8
	s_wait_alu 0xfffd
	v_cndmask_b32_e64 v13, 0, -1, vcc_lo
	v_cmp_le_u32_e32 vcc_lo, s21, v10
	s_wait_alu 0xfffd
	v_cndmask_b32_e64 v14, 0, -1, vcc_lo
	v_cmp_le_u32_e32 vcc_lo, s20, v7
	;; [unrolled: 3-line block ×3, first 2 shown]
	s_wait_alu 0xfffd
	v_cndmask_b32_e64 v15, 0, -1, vcc_lo
	v_cmp_eq_u32_e32 vcc_lo, s21, v10
	s_wait_alu 0xf1ff
	s_delay_alu instid0(VALU_DEP_2)
	v_cndmask_b32_e64 v7, v15, v7, s2
	s_wait_alu 0xfffd
	v_cndmask_b32_e32 v10, v14, v13, vcc_lo
	v_add_co_u32 v13, vcc_lo, v4, 1
	s_wait_alu 0xfffd
	v_add_co_ci_u32_e32 v14, vcc_lo, 0, v9, vcc_lo
	s_delay_alu instid0(VALU_DEP_3) | instskip(SKIP_2) | instid1(VALU_DEP_3)
	v_cmp_ne_u32_e32 vcc_lo, 0, v10
	s_wait_alu 0xfffd
	v_cndmask_b32_e32 v10, v13, v11, vcc_lo
	v_cndmask_b32_e32 v8, v14, v12, vcc_lo
	v_cmp_ne_u32_e32 vcc_lo, 0, v7
	s_wait_alu 0xfffd
	s_delay_alu instid0(VALU_DEP_2)
	v_dual_cndmask_b32 v7, v4, v10 :: v_dual_cndmask_b32 v8, v9, v8
.LBB0_4:                                ;   in Loop: Header=BB0_2 Depth=1
	s_wait_alu 0xfffe
	s_and_not1_saveexec_b32 s2, s22
	s_cbranch_execz .LBB0_6
; %bb.5:                                ;   in Loop: Header=BB0_2 Depth=1
	v_cvt_f32_u32_e32 v4, s20
	s_sub_co_i32 s22, 0, s20
	s_delay_alu instid0(VALU_DEP_1) | instskip(NEXT) | instid1(TRANS32_DEP_1)
	v_rcp_iflag_f32_e32 v4, v4
	v_mul_f32_e32 v4, 0x4f7ffffe, v4
	s_delay_alu instid0(VALU_DEP_1) | instskip(SKIP_1) | instid1(VALU_DEP_1)
	v_cvt_u32_f32_e32 v4, v4
	s_wait_alu 0xfffe
	v_mul_lo_u32 v7, s22, v4
	s_delay_alu instid0(VALU_DEP_1) | instskip(NEXT) | instid1(VALU_DEP_1)
	v_mul_hi_u32 v7, v4, v7
	v_add_nc_u32_e32 v4, v4, v7
	s_delay_alu instid0(VALU_DEP_1) | instskip(NEXT) | instid1(VALU_DEP_1)
	v_mul_hi_u32 v4, v5, v4
	v_mul_lo_u32 v7, v4, s20
	v_add_nc_u32_e32 v8, 1, v4
	s_delay_alu instid0(VALU_DEP_2) | instskip(NEXT) | instid1(VALU_DEP_1)
	v_sub_nc_u32_e32 v7, v5, v7
	v_subrev_nc_u32_e32 v9, s20, v7
	v_cmp_le_u32_e32 vcc_lo, s20, v7
	s_wait_alu 0xfffd
	s_delay_alu instid0(VALU_DEP_2) | instskip(NEXT) | instid1(VALU_DEP_1)
	v_dual_cndmask_b32 v7, v7, v9 :: v_dual_cndmask_b32 v4, v4, v8
	v_cmp_le_u32_e32 vcc_lo, s20, v7
	s_delay_alu instid0(VALU_DEP_2) | instskip(SKIP_1) | instid1(VALU_DEP_1)
	v_add_nc_u32_e32 v8, 1, v4
	s_wait_alu 0xfffd
	v_dual_cndmask_b32 v7, v4, v8 :: v_dual_mov_b32 v8, v3
.LBB0_6:                                ;   in Loop: Header=BB0_2 Depth=1
	s_wait_alu 0xfffe
	s_or_b32 exec_lo, exec_lo, s2
	s_load_b64 s[22:23], s[14:15], 0x0
	s_delay_alu instid0(VALU_DEP_1)
	v_mul_lo_u32 v4, v8, s20
	v_mul_lo_u32 v11, v7, s21
	v_mad_co_u64_u32 v[9:10], null, v7, s20, 0
	s_add_nc_u64 s[16:17], s[16:17], 1
	s_add_nc_u64 s[14:15], s[14:15], 8
	s_wait_alu 0xfffe
	v_cmp_ge_u64_e64 s2, s[16:17], s[6:7]
	s_add_nc_u64 s[18:19], s[18:19], 8
	s_delay_alu instid0(VALU_DEP_2) | instskip(NEXT) | instid1(VALU_DEP_3)
	v_add3_u32 v4, v10, v11, v4
	v_sub_co_u32 v5, vcc_lo, v5, v9
	s_wait_alu 0xfffd
	s_delay_alu instid0(VALU_DEP_2) | instskip(SKIP_3) | instid1(VALU_DEP_2)
	v_sub_co_ci_u32_e32 v4, vcc_lo, v6, v4, vcc_lo
	s_and_b32 vcc_lo, exec_lo, s2
	s_wait_kmcnt 0x0
	v_mul_lo_u32 v6, s23, v5
	v_mul_lo_u32 v4, s22, v4
	v_mad_co_u64_u32 v[1:2], null, s22, v5, v[1:2]
	s_delay_alu instid0(VALU_DEP_1)
	v_add3_u32 v2, v6, v2, v4
	s_wait_alu 0xfffe
	s_cbranch_vccnz .LBB0_9
; %bb.7:                                ;   in Loop: Header=BB0_2 Depth=1
	v_dual_mov_b32 v5, v7 :: v_dual_mov_b32 v6, v8
	s_branch .LBB0_2
.LBB0_8:
	v_dual_mov_b32 v8, v6 :: v_dual_mov_b32 v7, v5
.LBB0_9:
	s_lshl_b64 s[2:3], s[6:7], 3
	v_mul_hi_u32 v3, 0x4924925, v0
	s_wait_alu 0xfffe
	s_add_nc_u64 s[2:3], s[12:13], s[2:3]
	s_load_b64 s[0:1], s[0:1], 0x20
	s_load_b64 s[2:3], s[2:3], 0x0
                                        ; implicit-def: $vgpr120
                                        ; implicit-def: $vgpr129
	s_delay_alu instid0(VALU_DEP_1) | instskip(NEXT) | instid1(VALU_DEP_1)
	v_mul_u32_u24_e32 v3, 56, v3
	v_sub_nc_u32_e32 v128, v0, v3
	s_delay_alu instid0(VALU_DEP_1)
	v_add_nc_u32_e32 v130, 56, v128
	v_add_nc_u32_e32 v103, 0xa8, v128
	;; [unrolled: 1-line block ×4, first 2 shown]
	s_wait_kmcnt 0x0
	v_cmp_gt_u64_e32 vcc_lo, s[0:1], v[7:8]
	v_mul_lo_u32 v3, s2, v8
	v_mul_lo_u32 v4, s3, v7
	v_mad_co_u64_u32 v[0:1], null, s2, v7, v[1:2]
	v_cmp_le_u64_e64 s0, s[0:1], v[7:8]
	v_add_nc_u32_e32 v72, 0x150, v128
	v_add_nc_u32_e32 v73, 0x188, v128
	v_or_b32_e32 v74, 0x1c0, v128
	v_add3_u32 v1, v4, v1, v3
	s_and_saveexec_b32 s1, s0
	s_wait_alu 0xfffe
	s_xor_b32 s0, exec_lo, s1
; %bb.10:
	v_add_nc_u32_e32 v120, 56, v128
	v_add_nc_u32_e32 v129, 0x70, v128
	;; [unrolled: 1-line block ×7, first 2 shown]
	v_or_b32_e32 v74, 0x1c0, v128
; %bb.11:
	s_wait_alu 0xfffe
	s_or_saveexec_b32 s1, s0
	v_lshlrev_b64_e32 v[88:89], 4, v[0:1]
                                        ; implicit-def: $vgpr66_vgpr67
                                        ; implicit-def: $vgpr50_vgpr51
                                        ; implicit-def: $vgpr62_vgpr63
                                        ; implicit-def: $vgpr54_vgpr55
                                        ; implicit-def: $vgpr70_vgpr71
                                        ; implicit-def: $vgpr58_vgpr59
                                        ; implicit-def: $vgpr46_vgpr47
                                        ; implicit-def: $vgpr42_vgpr43
                                        ; implicit-def: $vgpr34_vgpr35
                                        ; implicit-def: $vgpr26_vgpr27
                                        ; implicit-def: $vgpr38_vgpr39
                                        ; implicit-def: $vgpr30_vgpr31
                                        ; implicit-def: $vgpr18_vgpr19
                                        ; implicit-def: $vgpr14_vgpr15
                                        ; implicit-def: $vgpr10_vgpr11
                                        ; implicit-def: $vgpr2_vgpr3
                                        ; implicit-def: $vgpr22_vgpr23
                                        ; implicit-def: $vgpr6_vgpr7
	s_wait_alu 0xfffe
	s_xor_b32 exec_lo, exec_lo, s1
	s_cbranch_execz .LBB0_13
; %bb.12:
	v_add_nc_u32_e32 v9, 0x1f8, v128
	v_add_nc_u32_e32 v129, 0x70, v128
	v_mad_co_u64_u32 v[0:1], null, s8, v128, 0
	v_mad_co_u64_u32 v[40:41], null, s8, v102, 0
	s_delay_alu instid0(VALU_DEP_4) | instskip(NEXT) | instid1(VALU_DEP_4)
	v_mad_co_u64_u32 v[2:3], null, s8, v9, 0
	v_mad_co_u64_u32 v[12:13], null, s8, v129, 0
	v_add_nc_u32_e32 v11, 0x230, v128
	v_add_nc_u32_e32 v17, 0x268, v128
	v_mad_co_u64_u32 v[4:5], null, s8, v130, 0
	v_mad_co_u64_u32 v[6:7], null, s9, v128, v[1:2]
	s_delay_alu instid0(VALU_DEP_4) | instskip(NEXT) | instid1(VALU_DEP_4)
	v_mad_co_u64_u32 v[7:8], null, s8, v11, 0
	v_mad_co_u64_u32 v[14:15], null, s8, v17, 0
	v_mov_b32_e32 v1, v3
	v_mad_co_u64_u32 v[24:25], null, s8, v103, 0
	v_add_nc_u32_e32 v30, 0x2a0, v128
	v_add_co_u32 v66, s0, s10, v88
	s_delay_alu instid0(VALU_DEP_4)
	v_mad_co_u64_u32 v[9:10], null, s9, v9, v[1:2]
	v_mov_b32_e32 v1, v6
	v_mad_co_u64_u32 v[5:6], null, s9, v130, v[5:6]
	v_mov_b32_e32 v6, v8
	s_wait_alu 0xf1ff
	v_add_co_ci_u32_e64 v67, s0, s11, v89, s0
	v_mov_b32_e32 v3, v9
	v_lshlrev_b64_e32 v[0:1], 4, v[0:1]
	v_mad_co_u64_u32 v[8:9], null, s9, v11, v[6:7]
	v_lshlrev_b64_e32 v[4:5], 4, v[4:5]
	s_delay_alu instid0(VALU_DEP_4)
	v_lshlrev_b64_e32 v[2:3], 4, v[2:3]
	v_mov_b32_e32 v6, v13
	v_add_co_u32 v0, s0, v66, v0
	s_wait_alu 0xf1ff
	v_add_co_ci_u32_e64 v1, s0, v67, v1, s0
	v_lshlrev_b64_e32 v[7:8], 4, v[7:8]
	v_add_co_u32 v2, s0, v66, v2
	s_wait_alu 0xf1ff
	v_add_co_ci_u32_e64 v3, s0, v67, v3, s0
	v_add_nc_u32_e32 v36, 0x310, v128
	s_delay_alu instid0(VALU_DEP_4)
	v_mad_co_u64_u32 v[9:10], null, s9, v129, v[6:7]
	v_add_co_u32 v10, s0, v66, v4
	v_mov_b32_e32 v4, v15
	s_wait_alu 0xf1ff
	v_add_co_ci_u32_e64 v11, s0, v67, v5, s0
	v_add_co_u32 v15, s0, v66, v7
	s_delay_alu instid0(VALU_DEP_3)
	v_mad_co_u64_u32 v[17:18], null, s9, v17, v[4:5]
	v_mov_b32_e32 v13, v9
	s_wait_alu 0xf1ff
	v_add_co_ci_u32_e64 v16, s0, v67, v8, s0
	s_clause 0x3
	global_load_b128 v[4:7], v[0:1], off
	global_load_b128 v[20:23], v[2:3], off
	;; [unrolled: 1-line block ×4, first 2 shown]
	v_mad_co_u64_u32 v[42:43], null, s8, v36, 0
	v_mov_b32_e32 v15, v17
	v_lshlrev_b64_e32 v[12:13], 4, v[12:13]
	v_mad_co_u64_u32 v[26:27], null, s8, v30, 0
	v_mov_b32_e32 v16, v25
	s_delay_alu instid0(VALU_DEP_4)
	v_lshlrev_b64_e32 v[14:15], 4, v[14:15]
	v_mad_co_u64_u32 v[28:29], null, s8, v104, 0
	v_add_co_u32 v12, s0, v66, v12
	s_wait_alu 0xf1ff
	v_add_co_ci_u32_e64 v13, s0, v67, v13, s0
	v_mad_co_u64_u32 v[16:17], null, s9, v103, v[16:17]
	v_dual_mov_b32 v17, v27 :: v_dual_add_nc_u32 v54, 0x348, v128
	v_add_co_u32 v18, s0, v66, v14
	v_mad_co_u64_u32 v[48:49], null, s8, v72, 0
	v_add_nc_u32_e32 v35, 0x2d8, v128
	s_delay_alu instid0(VALU_DEP_3) | instskip(SKIP_1) | instid1(VALU_DEP_3)
	v_mad_co_u64_u32 v[30:31], null, s9, v30, v[17:18]
	v_dual_mov_b32 v27, v29 :: v_dual_add_nc_u32 v62, 0x3b8, v128
	v_mad_co_u64_u32 v[31:32], null, s8, v35, 0
	v_mad_co_u64_u32 v[57:58], null, s8, v74, 0
	s_delay_alu instid0(VALU_DEP_3) | instskip(SKIP_1) | instid1(VALU_DEP_4)
	v_mad_co_u64_u32 v[33:34], null, s9, v104, v[27:28]
	v_mov_b32_e32 v27, v30
	v_dual_mov_b32 v25, v16 :: v_dual_mov_b32 v30, v32
	s_wait_alu 0xf1ff
	v_add_co_ci_u32_e64 v19, s0, v67, v15, s0
	s_delay_alu instid0(VALU_DEP_3) | instskip(SKIP_4) | instid1(VALU_DEP_4)
	v_lshlrev_b64_e32 v[26:27], 4, v[26:27]
	v_mov_b32_e32 v29, v33
	v_mad_co_u64_u32 v[32:33], null, s9, v35, v[30:31]
	v_lshlrev_b64_e32 v[24:25], 4, v[24:25]
	v_mov_b32_e32 v30, v41
	v_lshlrev_b64_e32 v[28:29], 4, v[28:29]
	s_clause 0x1
	global_load_b128 v[12:15], v[12:13], off
	global_load_b128 v[16:19], v[18:19], off
	v_mad_co_u64_u32 v[50:51], null, s8, v54, 0
	v_lshlrev_b64_e32 v[31:32], 4, v[31:32]
	v_add_co_u32 v24, s0, v66, v24
	s_wait_alu 0xf1ff
	v_add_co_ci_u32_e64 v25, s0, v67, v25, s0
	v_add_co_u32 v26, s0, v66, v26
	s_wait_alu 0xf1ff
	v_add_co_ci_u32_e64 v27, s0, v67, v27, s0
	v_mad_co_u64_u32 v[33:34], null, s9, v102, v[30:31]
	v_add_co_u32 v34, s0, v66, v28
	v_mov_b32_e32 v28, v43
	s_wait_alu 0xf1ff
	v_add_co_ci_u32_e64 v35, s0, v67, v29, s0
	v_add_co_u32 v43, s0, v66, v31
	s_delay_alu instid0(VALU_DEP_3)
	v_mad_co_u64_u32 v[45:46], null, s9, v36, v[28:29]
	v_mov_b32_e32 v41, v33
	s_wait_alu 0xf1ff
	v_add_co_ci_u32_e64 v44, s0, v67, v32, s0
	s_clause 0x3
	global_load_b128 v[28:31], v[24:25], off
	global_load_b128 v[36:39], v[26:27], off
	;; [unrolled: 1-line block ×4, first 2 shown]
	v_mov_b32_e32 v44, v49
	v_lshlrev_b64_e32 v[40:41], 4, v[40:41]
	v_dual_mov_b32 v43, v45 :: v_dual_mov_b32 v120, v130
	v_or_b32_e32 v59, 0x380, v128
	s_delay_alu instid0(VALU_DEP_4) | instskip(NEXT) | instid1(VALU_DEP_3)
	v_mad_co_u64_u32 v[44:45], null, s9, v72, v[44:45]
	v_lshlrev_b64_e32 v[42:43], 4, v[42:43]
	v_add_co_u32 v40, s0, v66, v40
	s_wait_alu 0xf1ff
	v_add_co_ci_u32_e64 v41, s0, v67, v41, s0
	v_mov_b32_e32 v45, v51
	s_delay_alu instid0(VALU_DEP_4) | instskip(SKIP_2) | instid1(VALU_DEP_3)
	v_add_co_u32 v46, s0, v66, v42
	v_mad_co_u64_u32 v[52:53], null, s8, v73, 0
	v_mov_b32_e32 v49, v44
	v_mad_co_u64_u32 v[54:55], null, s9, v54, v[45:46]
	v_mad_co_u64_u32 v[55:56], null, s8, v59, 0
	s_delay_alu instid0(VALU_DEP_3)
	v_lshlrev_b64_e32 v[48:49], 4, v[48:49]
	s_wait_alu 0xf1ff
	v_add_co_ci_u32_e64 v47, s0, v67, v43, s0
	s_clause 0x1
	global_load_b128 v[40:43], v[40:41], off
	global_load_b128 v[44:47], v[46:47], off
	v_mov_b32_e32 v51, v54
	v_mad_co_u64_u32 v[53:54], null, s9, v73, v[53:54]
	v_mov_b32_e32 v54, v56
	v_add_co_u32 v48, s0, v66, v48
	s_delay_alu instid0(VALU_DEP_4)
	v_lshlrev_b64_e32 v[50:51], 4, v[50:51]
	s_wait_alu 0xf1ff
	v_add_co_ci_u32_e64 v49, s0, v67, v49, s0
	v_mad_co_u64_u32 v[59:60], null, s9, v59, v[54:55]
	v_mad_co_u64_u32 v[60:61], null, s8, v62, 0
	v_mov_b32_e32 v54, v58
	v_lshlrev_b64_e32 v[52:53], 4, v[52:53]
	v_add_co_u32 v50, s0, v66, v50
	v_mov_b32_e32 v56, v59
	s_delay_alu instid0(VALU_DEP_4) | instskip(SKIP_4) | instid1(VALU_DEP_3)
	v_mad_co_u64_u32 v[58:59], null, s9, v74, v[54:55]
	v_mov_b32_e32 v54, v61
	s_wait_alu 0xf1ff
	v_add_co_ci_u32_e64 v51, s0, v67, v51, s0
	v_add_co_u32 v52, s0, v66, v52
	v_mad_co_u64_u32 v[61:62], null, s9, v62, v[54:55]
	v_lshlrev_b64_e32 v[54:55], 4, v[55:56]
	s_wait_alu 0xf1ff
	v_add_co_ci_u32_e64 v53, s0, v67, v53, s0
	v_lshlrev_b64_e32 v[56:57], 4, v[57:58]
	s_delay_alu instid0(VALU_DEP_3) | instskip(SKIP_3) | instid1(VALU_DEP_4)
	v_add_co_u32 v62, s0, v66, v54
	s_wait_alu 0xf1ff
	v_add_co_ci_u32_e64 v63, s0, v67, v55, s0
	v_lshlrev_b64_e32 v[54:55], 4, v[60:61]
	v_add_co_u32 v64, s0, v66, v56
	s_wait_alu 0xf1ff
	v_add_co_ci_u32_e64 v65, s0, v67, v57, s0
	s_delay_alu instid0(VALU_DEP_3)
	v_add_co_u32 v66, s0, v66, v54
	s_wait_alu 0xf1ff
	v_add_co_ci_u32_e64 v67, s0, v67, v55, s0
	s_clause 0x5
	global_load_b128 v[56:59], v[48:49], off
	global_load_b128 v[68:71], v[50:51], off
	;; [unrolled: 1-line block ×6, first 2 shown]
.LBB0_13:
	s_or_b32 exec_lo, exec_lo, s1
	s_wait_loadcnt 0x10
	v_add_f64_e64 v[20:21], v[4:5], -v[20:21]
	s_wait_loadcnt 0xe
	v_add_f64_e64 v[77:78], v[0:1], -v[8:9]
	v_add_f64_e64 v[8:9], v[6:7], -v[22:23]
	;; [unrolled: 1-line block ×3, first 2 shown]
	s_wait_loadcnt 0xc
	v_add_f64_e64 v[81:82], v[12:13], -v[16:17]
	v_add_f64_e64 v[16:17], v[14:15], -v[18:19]
	s_wait_loadcnt 0xa
	v_add_f64_e64 v[36:37], v[28:29], -v[36:37]
	s_wait_loadcnt 0x8
	v_add_f64_e64 v[85:86], v[24:25], -v[32:33]
	v_add_f64_e64 v[32:33], v[30:31], -v[38:39]
	;; [unrolled: 1-line block ×3, first 2 shown]
	s_wait_loadcnt 0x6
	v_add_f64_e64 v[92:93], v[40:41], -v[44:45]
	s_wait_loadcnt 0x4
	v_add_f64_e64 v[68:69], v[56:57], -v[68:69]
	;; [unrolled: 2-line block ×4, first 2 shown]
	v_add_f64_e64 v[44:45], v[42:43], -v[46:47]
	v_add_f64_e64 v[60:61], v[58:59], -v[70:71]
	v_add_f64_e64 v[133:134], v[54:55], -v[62:63]
	v_add_f64_e64 v[137:138], v[50:51], -v[66:67]
	v_lshl_add_u32 v87, v128, 4, 0
	v_lshl_add_u32 v119, v103, 4, 0
	;; [unrolled: 1-line block ×5, first 2 shown]
	v_lshlrev_b32_e32 v10, 3, v72
	v_lshl_add_u32 v112, v120, 4, 0
	v_lshl_add_u32 v105, v129, 4, 0
	;; [unrolled: 1-line block ×3, first 2 shown]
	v_lshlrev_b32_e32 v11, 3, v73
	v_lshlrev_b32_e32 v106, 3, v120
	;; [unrolled: 1-line block ×3, first 2 shown]
	v_sub_nc_u32_e32 v117, v139, v10
	v_lshrrev_b32_e32 v160, 4, v102
	v_and_b32_e32 v161, 0xff, v120
	v_sub_nc_u32_e32 v108, v112, v106
	v_sub_nc_u32_e32 v111, v105, v107
	v_lshrrev_b32_e32 v157, 4, v129
	v_lshrrev_b32_e32 v158, 4, v103
	v_lshrrev_b32_e32 v159, 4, v104
	v_fma_f64 v[18:19], v[4:5], 2.0, -v[20:21]
	v_fma_f64 v[75:76], v[0:1], 2.0, -v[77:78]
	;; [unrolled: 1-line block ×18, first 2 shown]
	v_lshlrev_b32_e32 v0, 3, v128
	v_lshlrev_b32_e32 v1, 3, v103
	;; [unrolled: 1-line block ×4, first 2 shown]
	v_lshl_add_u32 v28, v74, 4, 0
	v_lshlrev_b32_e32 v12, 3, v74
	v_sub_nc_u32_e32 v121, v87, v0
	v_sub_nc_u32_e32 v109, v119, v1
	;; [unrolled: 1-line block ×6, first 2 shown]
	v_add_nc_u32_e32 v113, 0xc00, v121
	v_add_nc_u32_e32 v114, 0x1000, v121
	;; [unrolled: 1-line block ×4, first 2 shown]
	v_cmp_gt_u32_e64 s0, 48, v128
	v_lshrrev_b32_e32 v156, 4, v120
	v_lshrrev_b32_e32 v155, 4, v128
	v_and_b32_e32 v162, 0xff, v129
	ds_store_b128 v87, v[18:21]
	ds_store_b128 v112, v[75:78]
	;; [unrolled: 1-line block ×9, first 2 shown]
	global_wb scope:SCOPE_SE
	s_wait_dscnt 0x0
	s_barrier_signal -1
	s_barrier_wait -1
	global_inv scope:SCOPE_SE
	ds_load_b64 v[38:39], v121
	ds_load_b64 v[40:41], v109
	;; [unrolled: 1-line block ×9, first 2 shown]
	ds_load_b64 v[64:65], v121 offset:7616
	ds_load_2addr_b64 v[2:5], v113 offset0:120 offset1:176
	ds_load_2addr_b64 v[10:13], v114 offset0:104 offset1:160
	;; [unrolled: 1-line block ×4, first 2 shown]
	global_wb scope:SCOPE_SE
	s_wait_dscnt 0x0
	s_barrier_signal -1
	s_barrier_wait -1
	global_inv scope:SCOPE_SE
	ds_store_b128 v87, v[6:9]
	ds_store_b128 v112, v[98:101]
	;; [unrolled: 1-line block ×5, first 2 shown]
	v_and_b32_e32 v87, 1, v128
	ds_store_b128 v127, v[42:45]
	ds_store_b128 v139, v[58:61]
	;; [unrolled: 1-line block ×4, first 2 shown]
	global_wb scope:SCOPE_SE
	s_wait_dscnt 0x0
	s_barrier_signal -1
	s_barrier_wait -1
	v_lshlrev_b32_e32 v6, 4, v87
	global_inv scope:SCOPE_SE
	v_and_b32_e32 v119, 3, v128
	v_and_b32_e32 v133, 7, v128
	s_mov_b32 s2, 0xe8584caa
	global_load_b128 v[6:9], v6, s[4:5]
	ds_load_2addr_b64 v[14:17], v113 offset0:120 offset1:176
	ds_load_2addr_b64 v[26:29], v114 offset0:104 offset1:160
	;; [unrolled: 1-line block ×4, first 2 shown]
	ds_load_b64 v[42:43], v121 offset:7616
	ds_load_b64 v[44:45], v108
	ds_load_b64 v[58:59], v121
	s_mov_b32 s3, 0x3febb67a
	s_mov_b32 s7, 0xbfebb67a
	s_wait_alu 0xfffe
	s_mov_b32 s6, s2
	s_wait_loadcnt_dscnt 0x6
	v_mul_f64_e32 v[60:61], v[14:15], v[8:9]
	s_wait_dscnt 0x5
	v_mul_f64_e32 v[68:69], v[26:27], v[8:9]
	v_mul_f64_e32 v[66:67], v[16:17], v[8:9]
	;; [unrolled: 1-line block ×7, first 2 shown]
	s_wait_dscnt 0x4
	v_mul_f64_e32 v[75:76], v[30:31], v[8:9]
	v_mul_f64_e32 v[96:97], v[18:19], v[8:9]
	;; [unrolled: 1-line block ×4, first 2 shown]
	s_wait_dscnt 0x3
	v_mul_f64_e32 v[79:80], v[34:35], v[8:9]
	v_mul_f64_e32 v[100:101], v[22:23], v[8:9]
	;; [unrolled: 1-line block ×4, first 2 shown]
	s_wait_dscnt 0x2
	v_mul_f64_e32 v[83:84], v[42:43], v[8:9]
	v_mul_f64_e32 v[8:9], v[64:65], v[8:9]
	v_fma_f64 v[2:3], v[2:3], v[6:7], -v[60:61]
	v_fma_f64 v[10:11], v[10:11], v[6:7], -v[68:69]
	v_fma_f64 v[4:5], v[4:5], v[6:7], -v[66:67]
	v_fma_f64 v[14:15], v[14:15], v[6:7], v[85:86]
	v_fma_f64 v[16:17], v[16:17], v[6:7], v[90:91]
	;; [unrolled: 1-line block ×3, first 2 shown]
	v_fma_f64 v[12:13], v[12:13], v[6:7], -v[70:71]
	v_fma_f64 v[28:29], v[28:29], v[6:7], v[94:95]
	v_fma_f64 v[18:19], v[18:19], v[6:7], -v[75:76]
	v_fma_f64 v[30:31], v[30:31], v[6:7], v[96:97]
	;; [unrolled: 2-line block ×6, first 2 shown]
	ds_load_b64 v[70:71], v111
	ds_load_b64 v[75:76], v109
	;; [unrolled: 1-line block ×7, first 2 shown]
	v_lshlrev_b32_e32 v6, 1, v120
	v_lshlrev_b32_e32 v7, 1, v129
	v_lshlrev_b32_e32 v8, 1, v103
	v_lshlrev_b32_e32 v9, 1, v104
	global_wb scope:SCOPE_SE
	s_wait_dscnt 0x0
	v_and_or_b32 v94, 0xfc, v6, v87
	v_and_or_b32 v95, 0x1fc, v7, v87
	s_barrier_signal -1
	s_barrier_wait -1
	global_inv scope:SCOPE_SE
	v_lshl_add_u32 v94, v94, 3, 0
	v_lshl_add_u32 v95, v95, 3, 0
	v_add_f64_e64 v[64:65], v[38:39], -v[2:3]
	v_add_f64_e64 v[68:69], v[56:57], -v[10:11]
	;; [unrolled: 1-line block ×3, first 2 shown]
	v_lshlrev_b32_e32 v2, 1, v72
	v_lshlrev_b32_e32 v3, 1, v73
	v_add_f64_e64 v[72:73], v[58:59], -v[14:15]
	v_add_f64_e64 v[90:91], v[44:45], -v[16:17]
	;; [unrolled: 1-line block ×15, first 2 shown]
	v_lshlrev_b32_e32 v4, 1, v74
	v_lshlrev_b32_e32 v5, 1, v128
	;; [unrolled: 1-line block ×3, first 2 shown]
	v_and_or_b32 v17, 0x1fc, v8, v87
	v_and_or_b32 v26, 0x3fc, v9, v87
	s_delay_alu instid0(VALU_DEP_4) | instskip(NEXT) | instid1(VALU_DEP_3)
	v_and_or_b32 v74, 0x7c, v5, v87
	v_lshl_add_u32 v97, v17, 3, 0
	s_delay_alu instid0(VALU_DEP_3) | instskip(NEXT) | instid1(VALU_DEP_3)
	v_lshl_add_u32 v98, v26, 3, 0
	v_lshl_add_u32 v96, v74, 3, 0
	v_fma_f64 v[13:14], v[38:39], 2.0, -v[64:65]
	v_fma_f64 v[37:38], v[56:57], 2.0, -v[68:69]
	v_and_or_b32 v56, 0x3fc, v2, v87
	v_and_or_b32 v57, 0x3fc, v3, v87
	v_fma_f64 v[15:16], v[62:63], 2.0, -v[66:67]
	v_and_or_b32 v62, 0x3fc, v4, v87
	v_fma_f64 v[44:45], v[44:45], 2.0, -v[90:91]
	v_lshl_add_u32 v99, v56, 3, 0
	v_lshl_add_u32 v100, v57, 3, 0
	v_fma_f64 v[56:57], v[58:59], 2.0, -v[72:73]
	v_fma_f64 v[58:59], v[70:71], 2.0, -v[92:93]
	;; [unrolled: 1-line block ×3, first 2 shown]
	v_lshl_add_u32 v101, v62, 3, 0
	v_fma_f64 v[62:63], v[75:76], 2.0, -v[27:28]
	v_fma_f64 v[46:47], v[46:47], 2.0, -v[18:19]
	;; [unrolled: 1-line block ×11, first 2 shown]
	v_and_or_b32 v41, 0x2fc, v10, v87
	v_lshlrev_b32_e32 v87, 4, v119
	s_delay_alu instid0(VALU_DEP_2)
	v_lshl_add_u32 v41, v41, 3, 0
	ds_store_2addr_b64 v96, v[13:14], v[64:65] offset1:2
	ds_store_2addr_b64 v94, v[15:16], v[66:67] offset1:2
	;; [unrolled: 1-line block ×9, first 2 shown]
	global_wb scope:SCOPE_SE
	s_wait_dscnt 0x0
	s_barrier_signal -1
	s_barrier_wait -1
	global_inv scope:SCOPE_SE
	ds_load_b64 v[47:48], v121
	ds_load_b64 v[49:50], v109
	;; [unrolled: 1-line block ×9, first 2 shown]
	ds_load_b64 v[84:85], v121 offset:7616
	ds_load_2addr_b64 v[11:14], v113 offset0:120 offset1:176
	ds_load_2addr_b64 v[15:18], v114 offset0:104 offset1:160
	;; [unrolled: 1-line block ×4, first 2 shown]
	global_wb scope:SCOPE_SE
	s_wait_dscnt 0x0
	s_barrier_signal -1
	s_barrier_wait -1
	global_inv scope:SCOPE_SE
	ds_store_2addr_b64 v96, v[56:57], v[72:73] offset1:2
	ds_store_2addr_b64 v94, v[44:45], v[90:91] offset1:2
	;; [unrolled: 1-line block ×9, first 2 shown]
	global_wb scope:SCOPE_SE
	s_wait_dscnt 0x0
	s_barrier_signal -1
	s_barrier_wait -1
	global_inv scope:SCOPE_SE
	global_load_b128 v[27:30], v87, s[4:5] offset:32
	ds_load_2addr_b64 v[31:34], v113 offset0:120 offset1:176
	ds_load_2addr_b64 v[35:38], v114 offset0:104 offset1:160
	ds_load_2addr_b64 v[39:42], v118 offset0:88 offset1:144
	ds_load_2addr_b64 v[43:46], v115 offset0:72 offset1:128
	ds_load_b64 v[55:56], v121 offset:7616
	ds_load_b64 v[57:58], v108
	ds_load_b64 v[62:63], v121
	s_wait_loadcnt_dscnt 0x6
	v_mul_f64_e32 v[70:71], v[31:32], v[29:30]
	s_wait_dscnt 0x2
	v_mul_f64_e32 v[92:93], v[55:56], v[29:30]
	v_mul_f64_e32 v[86:87], v[43:44], v[29:30]
	;; [unrolled: 1-line block ×17, first 2 shown]
	v_fma_f64 v[11:12], v[11:12], v[27:28], -v[70:71]
	v_fma_f64 v[70:71], v[84:85], v[27:28], -v[92:93]
	;; [unrolled: 1-line block ×3, first 2 shown]
	v_fma_f64 v[31:32], v[31:32], v[27:28], v[94:95]
	v_fma_f64 v[13:14], v[13:14], v[27:28], -v[72:73]
	v_fma_f64 v[33:34], v[33:34], v[27:28], v[96:97]
	v_fma_f64 v[15:16], v[15:16], v[27:28], -v[74:75]
	;; [unrolled: 2-line block ×5, first 2 shown]
	v_fma_f64 v[41:42], v[41:42], v[27:28], v[124:125]
	v_fma_f64 v[43:44], v[43:44], v[27:28], v[126:127]
	v_fma_f64 v[25:26], v[25:26], v[27:28], -v[90:91]
	v_fma_f64 v[45:46], v[45:46], v[27:28], v[131:132]
	v_fma_f64 v[27:28], v[55:56], v[27:28], v[29:30]
	v_and_or_b32 v84, 0x78, v5, v119
	v_and_or_b32 v85, 0xf8, v6, v119
	;; [unrolled: 1-line block ×8, first 2 shown]
	v_lshlrev_b32_e32 v94, 4, v133
	v_lshl_add_u32 v95, v84, 3, 0
	v_lshl_add_u32 v96, v85, 3, 0
	;; [unrolled: 1-line block ×8, first 2 shown]
	v_and_or_b32 v2, 0x3f0, v2, v133
	v_and_or_b32 v3, 0x3f0, v3, v133
	;; [unrolled: 1-line block ×3, first 2 shown]
	v_add_f64_e64 v[11:12], v[47:48], -v[11:12]
	v_add_f64_e64 v[29:30], v[66:67], -v[70:71]
	ds_load_b64 v[55:56], v111
	ds_load_b64 v[70:71], v109
	;; [unrolled: 1-line block ×7, first 2 shown]
	v_add_f64_e64 v[23:24], v[60:61], -v[23:24]
	s_wait_dscnt 0x7
	v_add_f64_e64 v[31:32], v[62:63], -v[31:32]
	v_add_f64_e64 v[13:14], v[82:83], -v[13:14]
	;; [unrolled: 1-line block ×5, first 2 shown]
	global_wb scope:SCOPE_SE
	s_wait_dscnt 0x0
	v_add_f64_e64 v[19:20], v[51:52], -v[19:20]
	s_barrier_signal -1
	v_add_f64_e64 v[21:22], v[53:54], -v[21:22]
	s_barrier_wait -1
	global_inv scope:SCOPE_SE
	v_add_f64_e64 v[25:26], v[64:65], -v[25:26]
	v_add_f64_e64 v[35:36], v[55:56], -v[35:36]
	v_add_f64_e64 v[37:38], v[70:71], -v[37:38]
	v_add_f64_e64 v[39:40], v[72:73], -v[39:40]
	v_add_f64_e64 v[41:42], v[74:75], -v[41:42]
	v_add_f64_e64 v[43:44], v[76:77], -v[43:44]
	v_add_f64_e64 v[45:46], v[78:79], -v[45:46]
	v_add_f64_e64 v[27:28], v[80:81], -v[27:28]
	v_lshl_add_u32 v139, v2, 3, 0
	v_lshl_add_u32 v140, v3, 3, 0
	;; [unrolled: 1-line block ×3, first 2 shown]
	v_fma_f64 v[47:48], v[47:48], 2.0, -v[11:12]
	v_fma_f64 v[66:67], v[66:67], 2.0, -v[29:30]
	;; [unrolled: 1-line block ×3, first 2 shown]
	v_and_or_b32 v61, 0x1f8, v8, v119
	v_fma_f64 v[82:83], v[82:83], 2.0, -v[13:14]
	v_fma_f64 v[57:58], v[57:58], 2.0, -v[33:34]
	;; [unrolled: 1-line block ×4, first 2 shown]
	v_lshl_add_u32 v97, v61, 3, 0
	v_fma_f64 v[61:62], v[62:63], 2.0, -v[31:32]
	v_fma_f64 v[51:52], v[51:52], 2.0, -v[19:20]
	;; [unrolled: 1-line block ×3, first 2 shown]
	v_and_b32_e32 v119, 15, v128
	v_fma_f64 v[64:65], v[64:65], 2.0, -v[25:26]
	v_fma_f64 v[55:56], v[55:56], 2.0, -v[35:36]
	;; [unrolled: 1-line block ×8, first 2 shown]
	ds_store_2addr_b64 v95, v[47:48], v[11:12] offset1:4
	ds_store_2addr_b64 v96, v[82:83], v[13:14] offset1:4
	;; [unrolled: 1-line block ×9, first 2 shown]
	global_wb scope:SCOPE_SE
	s_wait_dscnt 0x0
	s_barrier_signal -1
	s_barrier_wait -1
	global_inv scope:SCOPE_SE
	ds_load_b64 v[47:48], v121
	ds_load_b64 v[49:50], v109
	;; [unrolled: 1-line block ×9, first 2 shown]
	ds_load_b64 v[84:85], v121 offset:7616
	ds_load_2addr_b64 v[11:14], v113 offset0:120 offset1:176
	ds_load_2addr_b64 v[15:18], v114 offset0:104 offset1:160
	;; [unrolled: 1-line block ×4, first 2 shown]
	global_wb scope:SCOPE_SE
	s_wait_dscnt 0x0
	s_barrier_signal -1
	s_barrier_wait -1
	global_inv scope:SCOPE_SE
	ds_store_2addr_b64 v95, v[61:62], v[31:32] offset1:4
	ds_store_2addr_b64 v96, v[57:58], v[33:34] offset1:4
	ds_store_2addr_b64 v86, v[55:56], v[35:36] offset1:4
	ds_store_2addr_b64 v97, v[70:71], v[37:38] offset1:4
	ds_store_2addr_b64 v87, v[72:73], v[39:40] offset1:4
	ds_store_2addr_b64 v90, v[74:75], v[41:42] offset1:4
	ds_store_2addr_b64 v91, v[76:77], v[43:44] offset1:4
	ds_store_2addr_b64 v92, v[78:79], v[45:46] offset1:4
	ds_store_2addr_b64 v93, v[80:81], v[27:28] offset1:4
	global_wb scope:SCOPE_SE
	s_wait_dscnt 0x0
	s_barrier_signal -1
	s_barrier_wait -1
	global_inv scope:SCOPE_SE
	global_load_b128 v[27:30], v94, s[4:5] offset:96
	ds_load_2addr_b64 v[31:34], v113 offset0:120 offset1:176
	ds_load_2addr_b64 v[35:38], v114 offset0:104 offset1:160
	ds_load_2addr_b64 v[39:42], v118 offset0:88 offset1:144
	ds_load_2addr_b64 v[43:46], v115 offset0:72 offset1:128
	ds_load_b64 v[55:56], v121 offset:7616
	ds_load_b64 v[57:58], v108
	ds_load_b64 v[61:62], v121
	v_and_or_b32 v81, 0x1f0, v7, v133
	s_delay_alu instid0(VALU_DEP_1)
	v_lshl_add_u32 v135, v81, 3, 0
	s_wait_loadcnt_dscnt 0x6
	v_mul_f64_e32 v[69:70], v[31:32], v[29:30]
	s_wait_dscnt 0x2
	v_mul_f64_e32 v[92:93], v[55:56], v[29:30]
	v_mul_f64_e32 v[94:95], v[11:12], v[29:30]
	;; [unrolled: 1-line block ×17, first 2 shown]
	v_fma_f64 v[11:12], v[11:12], v[27:28], -v[69:70]
	v_fma_f64 v[69:70], v[84:85], v[27:28], -v[92:93]
	v_fma_f64 v[31:32], v[31:32], v[27:28], v[94:95]
	v_fma_f64 v[13:14], v[13:14], v[27:28], -v[71:72]
	v_fma_f64 v[33:34], v[33:34], v[27:28], v[96:97]
	;; [unrolled: 2-line block ×8, first 2 shown]
	v_fma_f64 v[27:28], v[55:56], v[27:28], v[29:30]
	v_and_or_b32 v79, 0x70, v5, v133
	v_and_or_b32 v80, 0xf0, v6, v133
	;; [unrolled: 1-line block ×5, first 2 shown]
	v_and_b32_e32 v123, 15, v120
	v_and_b32_e32 v124, 15, v103
	v_lshl_add_u32 v133, v79, 3, 0
	v_lshlrev_b32_e32 v131, 5, v119
	v_lshl_add_u32 v138, v86, 3, 0
	v_lshlrev_b32_e32 v127, 5, v123
	;; [unrolled: 2-line block ×3, first 2 shown]
	v_add_nc_u32_e32 v122, 0x800, v121
	v_lshl_add_u32 v136, v84, 3, 0
	v_lshl_add_u32 v137, v85, 3, 0
	v_add_f64_e64 v[11:12], v[47:48], -v[11:12]
	v_add_f64_e64 v[29:30], v[65:66], -v[69:70]
	ds_load_b64 v[55:56], v111
	ds_load_b64 v[69:70], v109
	;; [unrolled: 1-line block ×7, first 2 shown]
	s_wait_dscnt 0x7
	v_add_f64_e64 v[5:6], v[61:62], -v[31:32]
	v_add_f64_e64 v[13:14], v[82:83], -v[13:14]
	;; [unrolled: 1-line block ×5, first 2 shown]
	global_wb scope:SCOPE_SE
	s_wait_dscnt 0x0
	v_add_f64_e64 v[19:20], v[51:52], -v[19:20]
	s_barrier_signal -1
	v_add_f64_e64 v[21:22], v[53:54], -v[21:22]
	s_barrier_wait -1
	v_add_f64_e64 v[23:24], v[59:60], -v[23:24]
	global_inv scope:SCOPE_SE
	v_add_f64_e64 v[25:26], v[63:64], -v[25:26]
	v_add_f64_e64 v[9:10], v[55:56], -v[35:36]
	;; [unrolled: 1-line block ×8, first 2 shown]
	v_fma_f64 v[27:28], v[47:48], 2.0, -v[11:12]
	v_fma_f64 v[2:3], v[61:62], 2.0, -v[5:6]
	;; [unrolled: 1-line block ×18, first 2 shown]
	ds_store_2addr_b64 v133, v[27:28], v[11:12] offset1:8
	ds_store_2addr_b64 v134, v[43:44], v[13:14] offset1:8
	;; [unrolled: 1-line block ×9, first 2 shown]
	global_wb scope:SCOPE_SE
	s_wait_dscnt 0x0
	s_barrier_signal -1
	s_barrier_wait -1
	global_inv scope:SCOPE_SE
	ds_load_b64 v[78:79], v121
	ds_load_2addr_b64 v[24:27], v114 offset0:104 offset1:160
	ds_load_2addr_b64 v[56:59], v122 offset0:136 offset1:192
	ds_load_b64 v[76:77], v109
	ds_load_b64 v[72:73], v110
	;; [unrolled: 1-line block ×6, first 2 shown]
	ds_load_b64 v[84:85], v121 offset:7616
	ds_load_2addr_b64 v[68:71], v118 offset0:88 offset1:144
	ds_load_2addr_b64 v[60:63], v113 offset0:120 offset1:176
	ds_load_2addr_b64 v[64:67], v115 offset0:72 offset1:128
	global_wb scope:SCOPE_SE
	s_wait_dscnt 0x0
	s_barrier_signal -1
	s_barrier_wait -1
	global_inv scope:SCOPE_SE
	ds_store_2addr_b64 v133, v[2:3], v[5:6] offset1:8
	ds_store_2addr_b64 v134, v[86:87], v[7:8] offset1:8
	;; [unrolled: 1-line block ×9, first 2 shown]
	global_wb scope:SCOPE_SE
	s_wait_dscnt 0x0
	s_barrier_signal -1
	s_barrier_wait -1
	global_inv scope:SCOPE_SE
	s_clause 0x2
	global_load_b128 v[8:11], v127, s[4:5] offset:240
	global_load_b128 v[0:3], v131, s[4:5] offset:240
	;; [unrolled: 1-line block ×3, first 2 shown]
	v_and_b32_e32 v125, 15, v102
	s_clause 0x2
	global_load_b128 v[20:23], v127, s[4:5] offset:224
	global_load_b128 v[12:15], v131, s[4:5] offset:224
	;; [unrolled: 1-line block ×3, first 2 shown]
	v_lshlrev_b32_e32 v32, 5, v125
	s_clause 0x1
	global_load_b128 v[28:31], v32, s[4:5] offset:224
	global_load_b128 v[32:35], v32, s[4:5] offset:240
	ds_load_2addr_b64 v[48:51], v118 offset0:88 offset1:144
	ds_load_2addr_b64 v[36:39], v115 offset0:72 offset1:128
	;; [unrolled: 1-line block ×5, first 2 shown]
	ds_load_b64 v[96:97], v117
	ds_load_b64 v[94:95], v121 offset:7616
	ds_load_b64 v[86:87], v116
	ds_load_b64 v[90:91], v111
	;; [unrolled: 1-line block ×4, first 2 shown]
	s_wait_loadcnt_dscnt 0x70a
	v_mul_f64_e32 v[126:127], v[48:49], v[10:11]
	s_wait_loadcnt 0x6
	v_mul_f64_e32 v[131:132], v[50:51], v[2:3]
	s_wait_loadcnt_dscnt 0x509
	v_mul_f64_e32 v[133:134], v[36:37], v[6:7]
	v_mul_f64_e32 v[135:136], v[38:39], v[2:3]
	s_wait_loadcnt_dscnt 0x307
	v_mul_f64_e32 v[143:144], v[42:43], v[14:15]
	s_wait_dscnt 0x6
	v_mul_f64_e32 v[145:146], v[46:47], v[2:3]
	s_wait_dscnt 0x5
	v_mul_f64_e32 v[149:150], v[96:97], v[14:15]
	v_mul_f64_e32 v[10:11], v[68:69], v[10:11]
	;; [unrolled: 1-line block ×6, first 2 shown]
	s_wait_loadcnt 0x1
	v_mul_f64_e32 v[147:148], v[44:45], v[30:31]
	v_mul_f64_e32 v[141:142], v[40:41], v[18:19]
	s_wait_loadcnt_dscnt 0x4
	v_mul_f64_e32 v[151:152], v[94:95], v[34:35]
	v_mul_f64_e32 v[22:23], v[56:57], v[22:23]
	;; [unrolled: 1-line block ×3, first 2 shown]
	v_fma_f64 v[68:69], v[68:69], v[8:9], -v[126:127]
	v_mul_f64_e32 v[126:127], v[66:67], v[2:3]
	v_mul_f64_e32 v[2:3], v[26:27], v[2:3]
	v_fma_f64 v[64:65], v[64:65], v[4:5], -v[133:134]
	v_mul_f64_e32 v[133:134], v[92:93], v[14:15]
	v_fma_f64 v[70:71], v[70:71], v[0:1], -v[131:132]
	v_mul_f64_e32 v[131:132], v[58:59], v[14:15]
	v_mul_f64_e32 v[14:15], v[62:63], v[14:15]
	v_fma_f64 v[66:67], v[66:67], v[0:1], -v[135:136]
	v_fma_f64 v[135:136], v[62:63], v[12:13], -v[143:144]
	;; [unrolled: 1-line block ×5, first 2 shown]
	v_mul_f64_e32 v[24:25], v[24:25], v[30:31]
	v_mul_f64_e32 v[30:31], v[84:85], v[34:35]
	v_fma_f64 v[34:35], v[92:93], v[12:13], -v[149:150]
	v_mov_b32_e32 v93, 0
	v_fma_f64 v[58:59], v[58:59], v[12:13], -v[139:140]
	v_fma_f64 v[60:61], v[60:61], v[16:17], -v[141:142]
	;; [unrolled: 1-line block ×3, first 2 shown]
	v_fma_f64 v[8:9], v[48:49], v[8:9], v[10:11]
	v_fma_f64 v[10:11], v[52:53], v[20:21], v[22:23]
	;; [unrolled: 1-line block ×5, first 2 shown]
	v_and_b32_e32 v137, 0xff, v103
	v_and_b32_e32 v138, 0xffff, v104
	v_subrev_nc_u32_e32 v92, 48, v128
	v_mul_lo_u32 v144, v160, 48
	v_mul_lo_u16 v145, 0xab, v161
	v_mul_lo_u16 v137, 0xab, v137
	v_mul_u32_u24_e32 v138, 0xaaab, v138
	v_mul_lo_u32 v141, v157, 48
	v_mul_lo_u32 v142, v158, 48
	;; [unrolled: 1-line block ×3, first 2 shown]
	v_lshrrev_b16 v160, 13, v137
	v_lshrrev_b32_e32 v161, 21, v138
	v_cndmask_b32_e64 v157, v92, v128, s0
	v_mul_lo_u32 v140, v156, 48
	v_mul_u32_u24_e32 v139, 48, v155
	v_fma_f64 v[2:3], v[46:47], v[0:1], v[2:3]
	v_fma_f64 v[0:1], v[38:39], v[0:1], v[126:127]
	;; [unrolled: 1-line block ×3, first 2 shown]
	v_lshlrev_b32_e32 v92, 1, v157
	v_fma_f64 v[22:23], v[54:55], v[12:13], v[131:132]
	v_fma_f64 v[12:13], v[42:43], v[12:13], v[14:15]
	v_or_b32_e32 v124, v142, v124
	v_or_b32_e32 v40, v143, v119
	;; [unrolled: 1-line block ×3, first 2 shown]
	v_lshlrev_b64_e32 v[38:39], 4, v[92:93]
	v_add_f64_e32 v[54:55], v[82:83], v[56:57]
	v_fma_f64 v[14:15], v[44:45], v[28:29], v[24:25]
	v_fma_f64 v[16:17], v[94:95], v[32:33], v[30:31]
	v_mul_lo_u16 v44, v160, 48
	v_mul_lo_u16 v45, v161, 48
	v_add_f64_e32 v[18:19], v[34:35], v[26:27]
	v_add_f64_e32 v[24:25], v[56:57], v[68:69]
	v_add_f64_e32 v[28:29], v[58:59], v[70:71]
	v_add_f64_e32 v[30:31], v[60:61], v[64:65]
	v_add_f64_e32 v[32:33], v[135:136], v[66:67]
	v_add_f64_e32 v[36:37], v[62:63], v[84:85]
	v_sub_nc_u16 v142, v103, v44
	v_sub_nc_u16 v143, v104, v45
	v_add_f64_e32 v[44:45], v[78:79], v[34:35]
	v_add_f64_e32 v[52:53], v[10:11], v[8:9]
	;; [unrolled: 1-line block ×3, first 2 shown]
	v_lshl_add_u32 v127, v123, 3, 0
	v_lshl_add_u32 v138, v124, 3, 0
	v_mul_lo_u16 v146, 0xab, v162
	v_lshrrev_b16 v158, 13, v145
	v_add_f64_e32 v[94:95], v[80:81], v[58:59]
	v_or_b32_e32 v139, v139, v119
	v_or_b32_e32 v137, v141, v119
	v_lshrrev_b16 v159, 13, v146
	v_mul_lo_u16 v42, v158, 48
	v_or_b32_e32 v41, v144, v125
	v_lshl_add_u32 v119, v139, 3, 0
	v_lshl_add_u32 v139, v40, 3, 0
	v_mul_lo_u16 v43, v159, 48
	v_sub_nc_u16 v40, v120, v42
	v_add_f64_e32 v[48:49], v[46:47], v[2:3]
	v_lshl_add_u32 v140, v41, 3, 0
	v_add_f64_e32 v[92:93], v[22:23], v[20:21]
	v_add_f64_e32 v[123:124], v[12:13], v[0:1]
	v_sub_nc_u16 v141, v129, v43
	v_and_b32_e32 v162, 0xff, v40
	ds_load_b64 v[40:41], v109
	ds_load_b64 v[42:43], v110
	v_add_f64_e64 v[50:51], v[46:47], -v[2:3]
	v_add_f64_e64 v[34:35], v[34:35], -v[26:27]
	s_wait_dscnt 0x2
	v_add_f64_e32 v[46:47], v[100:101], v[46:47]
	v_add_f64_e32 v[131:132], v[14:15], v[16:17]
	;; [unrolled: 1-line block ×4, first 2 shown]
	v_fma_f64 v[18:19], v[18:19], -0.5, v[78:79]
	v_add_f64_e64 v[78:79], v[10:11], -v[8:9]
	v_fma_f64 v[24:25], v[24:25], -0.5, v[82:83]
	v_add_f64_e64 v[82:83], v[22:23], -v[20:21]
	;; [unrolled: 2-line block ×6, first 2 shown]
	v_add_f64_e32 v[10:11], v[98:99], v[10:11]
	v_add_f64_e32 v[26:27], v[44:45], v[26:27]
	v_fma_f64 v[44:45], v[52:53], -0.5, v[98:99]
	v_add_f64_e64 v[58:59], v[58:59], -v[70:71]
	v_add_f64_e32 v[22:23], v[90:91], v[22:23]
	v_add_f64_e32 v[52:53], v[54:55], v[68:69]
	v_add_f64_e64 v[60:61], v[60:61], -v[64:65]
	s_wait_dscnt 0x1
	v_add_f64_e32 v[6:7], v[40:41], v[6:7]
	v_fma_f64 v[40:41], v[96:97], -0.5, v[40:41]
	v_add_f64_e32 v[133:134], v[74:75], v[62:63]
	v_add_f64_e64 v[74:75], v[135:136], -v[66:67]
	s_wait_dscnt 0x0
	v_add_f64_e32 v[12:13], v[42:43], v[12:13]
	v_add_f64_e64 v[62:63], v[62:63], -v[84:85]
	v_fma_f64 v[48:49], v[48:49], -0.5, v[100:101]
	v_add_f64_e32 v[14:15], v[86:87], v[14:15]
	v_fma_f64 v[54:55], v[92:93], -0.5, v[90:91]
	v_fma_f64 v[42:43], v[123:124], -0.5, v[42:43]
	v_add_f64_e32 v[68:69], v[94:95], v[70:71]
	v_and_b32_e32 v163, 0xff, v141
	v_lshlrev_b32_e32 v96, 5, v162
	v_and_b32_e32 v164, 0xff, v142
	v_and_b32_e32 v165, 0xffff, v143
	v_add_f64_e32 v[46:47], v[46:47], v[2:3]
	v_fma_f64 v[70:71], v[131:132], -0.5, v[86:87]
	v_add_f64_e32 v[64:65], v[103:104], v[64:65]
	v_add_f64_e32 v[66:67], v[125:126], v[66:67]
	v_fma_f64 v[86:87], v[50:51], s[2:3], v[18:19]
	s_wait_alu 0xfffe
	v_fma_f64 v[18:19], v[50:51], s[6:7], v[18:19]
	v_fma_f64 v[50:51], v[78:79], s[2:3], v[24:25]
	;; [unrolled: 1-line block ×11, first 2 shown]
	v_add_f64_e32 v[72:73], v[10:11], v[8:9]
	v_lshlrev_b32_e32 v97, 5, v163
	v_lshl_add_u32 v137, v137, 3, 0
	global_wb scope:SCOPE_SE
	v_add_f64_e32 v[90:91], v[22:23], v[20:21]
	s_barrier_signal -1
	s_barrier_wait -1
	v_add_f64_e32 v[4:5], v[6:7], v[4:5]
	global_inv scope:SCOPE_SE
	v_add_f64_e32 v[84:85], v[133:134], v[84:85]
	ds_store_2addr_b64 v119, v[26:27], v[86:87] offset1:16
	ds_store_b64 v119, v[18:19] offset:256
	ds_store_2addr_b64 v127, v[52:53], v[50:51] offset1:16
	ds_store_b64 v127, v[24:25] offset:256
	;; [unrolled: 2-line block ×6, first 2 shown]
	v_fma_f64 v[94:95], v[34:35], s[6:7], v[48:49]
	v_fma_f64 v[34:35], v[34:35], s[2:3], v[48:49]
	;; [unrolled: 1-line block ×8, first 2 shown]
	v_add_f64_e32 v[6:7], v[12:13], v[0:1]
	v_fma_f64 v[60:61], v[74:75], s[6:7], v[42:43]
	v_fma_f64 v[42:43], v[74:75], s[2:3], v[42:43]
	v_add_f64_e32 v[92:93], v[14:15], v[16:17]
	v_fma_f64 v[74:75], v[62:63], s[6:7], v[70:71]
	v_fma_f64 v[62:63], v[62:63], s[2:3], v[70:71]
	global_wb scope:SCOPE_SE
	s_wait_dscnt 0x0
	s_barrier_signal -1
	s_barrier_wait -1
	global_inv scope:SCOPE_SE
	ds_load_b64 v[86:87], v121
	ds_load_b64 v[103:104], v109
	;; [unrolled: 1-line block ×7, first 2 shown]
	ds_load_b64 v[64:65], v121 offset:7616
	ds_load_2addr_b64 v[0:3], v114 offset0:104 offset1:160
	ds_load_2addr_b64 v[8:11], v122 offset0:136 offset1:192
	;; [unrolled: 1-line block ×5, first 2 shown]
	global_wb scope:SCOPE_SE
	s_wait_dscnt 0x0
	s_barrier_signal -1
	s_barrier_wait -1
	global_inv scope:SCOPE_SE
	ds_store_2addr_b64 v119, v[46:47], v[94:95] offset1:16
	ds_store_b64 v119, v[34:35] offset:256
	ds_store_2addr_b64 v127, v[72:73], v[48:49] offset1:16
	ds_store_b64 v127, v[44:45] offset:256
	ds_store_2addr_b64 v137, v[90:91], v[56:57] offset1:16
	ds_store_b64 v137, v[54:55] offset:256
	ds_store_2addr_b64 v138, v[4:5], v[58:59] offset1:16
	ds_store_b64 v138, v[40:41] offset:256
	ds_store_2addr_b64 v139, v[6:7], v[60:61] offset1:16
	ds_store_b64 v139, v[42:43] offset:256
	ds_store_2addr_b64 v140, v[92:93], v[74:75] offset1:16
	ds_store_b64 v140, v[62:63] offset:256
	global_wb scope:SCOPE_SE
	s_wait_dscnt 0x0
	s_barrier_signal -1
	s_barrier_wait -1
	global_inv scope:SCOPE_SE
	s_clause 0x3
	global_load_b128 v[24:27], v96, s[4:5] offset:736
	global_load_b128 v[52:55], v97, s[4:5] offset:736
	;; [unrolled: 1-line block ×4, first 2 shown]
	v_lshlrev_b32_e32 v98, 5, v164
	v_add_co_u32 v4, s0, s4, v38
	v_lshlrev_b32_e32 v99, 5, v165
	s_wait_alu 0xf1ff
	v_add_co_ci_u32_e64 v5, s0, s5, v39, s0
	s_clause 0x4
	global_load_b128 v[74:77], v98, s[4:5] offset:736
	global_load_b128 v[78:81], v99, s[4:5] offset:736
	global_load_b128 v[32:35], v[4:5], off offset:752
	global_load_b128 v[82:85], v98, s[4:5] offset:752
	global_load_b128 v[90:93], v99, s[4:5] offset:752
	v_and_b32_e32 v6, 0xffff, v102
	global_load_b128 v[60:63], v[4:5], off offset:736
	v_cmp_lt_u32_e64 s0, 47, v128
	v_mul_u32_u24_e32 v6, 0xaaab, v6
	s_delay_alu instid0(VALU_DEP_1) | instskip(NEXT) | instid1(VALU_DEP_1)
	v_lshrrev_b32_e32 v127, 21, v6
	v_mul_lo_u16 v6, v127, 48
	s_delay_alu instid0(VALU_DEP_1) | instskip(NEXT) | instid1(VALU_DEP_1)
	v_sub_nc_u16 v6, v102, v6
	v_and_b32_e32 v166, 0xffff, v6
	s_delay_alu instid0(VALU_DEP_1)
	v_lshlrev_b32_e32 v4, 5, v166
	s_clause 0x1
	global_load_b128 v[94:97], v4, s[4:5] offset:736
	global_load_b128 v[98:101], v4, s[4:5] offset:752
	ds_load_2addr_b64 v[123:126], v122 offset0:136 offset1:192
	ds_load_2addr_b64 v[131:134], v118 offset0:88 offset1:144
	ds_load_2addr_b64 v[135:138], v113 offset0:120 offset1:176
	ds_load_2addr_b64 v[139:142], v114 offset0:104 offset1:160
	ds_load_2addr_b64 v[143:146], v115 offset0:72 offset1:128
	ds_load_b64 v[155:156], v117
	ds_load_b64 v[4:5], v116
	;; [unrolled: 1-line block ×3, first 2 shown]
	ds_load_b64 v[116:117], v121 offset:7616
	s_wait_loadcnt_dscnt 0xb08
	v_mul_f64_e32 v[28:29], v[123:124], v[26:27]
	s_wait_loadcnt 0xa
	v_mul_f64_e32 v[36:37], v[125:126], v[54:55]
	s_wait_loadcnt_dscnt 0x907
	v_mul_f64_e32 v[38:39], v[131:132], v[68:69]
	s_wait_loadcnt 0x8
	v_mul_f64_e32 v[40:41], v[133:134], v[72:73]
	v_mul_f64_e32 v[26:27], v[8:9], v[26:27]
	;; [unrolled: 1-line block ×3, first 2 shown]
	s_wait_loadcnt_dscnt 0x706
	v_mul_f64_e32 v[42:43], v[135:136], v[76:77]
	s_wait_loadcnt 0x6
	v_mul_f64_e32 v[44:45], v[137:138], v[80:81]
	s_wait_loadcnt_dscnt 0x505
	v_mul_f64_e32 v[46:47], v[141:142], v[34:35]
	s_wait_loadcnt_dscnt 0x404
	v_mul_f64_e32 v[58:59], v[143:144], v[84:85]
	s_wait_loadcnt 0x3
	v_mul_f64_e32 v[118:119], v[145:146], v[92:93]
	v_mul_f64_e32 v[48:49], v[2:3], v[34:35]
	v_fma_f64 v[30:31], v[8:9], v[24:25], -v[28:29]
	s_wait_loadcnt_dscnt 0x203
	v_mul_f64_e32 v[8:9], v[155:156], v[62:63]
	v_fma_f64 v[28:29], v[10:11], v[52:53], -v[36:37]
	v_mul_f64_e32 v[10:11], v[12:13], v[68:69]
	v_fma_f64 v[38:39], v[12:13], v[66:67], -v[38:39]
	v_fma_f64 v[34:35], v[14:15], v[70:71], -v[40:41]
	v_mul_f64_e32 v[12:13], v[14:15], v[72:73]
	v_mul_f64_e32 v[14:15], v[16:17], v[76:77]
	v_fma_f64 v[40:41], v[16:17], v[74:75], -v[42:43]
	v_fma_f64 v[36:37], v[18:19], v[78:79], -v[44:45]
	ds_load_b64 v[44:45], v121
	v_mul_f64_e32 v[16:17], v[18:19], v[80:81]
	s_wait_loadcnt 0x1
	v_mul_f64_e32 v[18:19], v[139:140], v[96:97]
	v_fma_f64 v[56:57], v[2:3], v[32:33], -v[46:47]
	v_mul_f64_e32 v[2:3], v[20:21], v[84:85]
	v_fma_f64 v[46:47], v[20:21], v[82:83], -v[58:59]
	v_fma_f64 v[42:43], v[22:23], v[90:91], -v[118:119]
	v_mul_f64_e32 v[20:21], v[22:23], v[92:93]
	s_wait_loadcnt_dscnt 0x1
	v_mul_f64_e32 v[22:23], v[116:117], v[100:101]
	v_fma_f64 v[32:33], v[141:142], v[32:33], v[48:49]
	v_fma_f64 v[58:59], v[50:51], v[60:61], -v[8:9]
	v_mul_f64_e32 v[8:9], v[50:51], v[62:63]
	v_fma_f64 v[62:63], v[125:126], v[52:53], v[54:55]
	v_fma_f64 v[52:53], v[131:132], v[66:67], v[10:11]
	v_add_f64_e32 v[10:11], v[30:31], v[38:39]
	v_fma_f64 v[54:55], v[133:134], v[70:71], v[12:13]
	v_fma_f64 v[66:67], v[135:136], v[74:75], v[14:15]
	v_lshl_add_u32 v131, v128, 3, 0
	v_sub_nc_u32_e32 v126, 0, v106
	v_fma_f64 v[70:71], v[137:138], v[78:79], v[16:17]
	ds_load_b64 v[78:79], v111
	v_fma_f64 v[48:49], v[0:1], v[94:95], -v[18:19]
	v_mul_f64_e32 v[0:1], v[0:1], v[96:97]
	v_mul_f64_e32 v[18:19], v[64:65], v[100:101]
	v_fma_f64 v[68:69], v[143:144], v[82:83], v[2:3]
	v_add_f64_e32 v[2:3], v[28:29], v[34:35]
	v_fma_f64 v[50:51], v[64:65], v[98:99], -v[22:23]
	v_add_f64_e32 v[12:13], v[40:41], v[46:47]
	v_fma_f64 v[72:73], v[145:146], v[90:91], v[20:21]
	v_add_f64_e32 v[20:21], v[153:154], v[30:31]
	v_add_f64_e32 v[22:23], v[151:152], v[28:29]
	v_lshlrev_b32_e32 v111, 3, v157
	v_add_f64_e32 v[16:17], v[86:87], v[58:59]
	v_fma_f64 v[64:65], v[155:156], v[60:61], v[8:9]
	v_add_f64_e32 v[8:9], v[58:59], v[56:57]
	v_fma_f64 v[60:61], v[123:124], v[24:25], v[26:27]
	v_fma_f64 v[10:11], v[10:11], -0.5, v[153:154]
	v_add_f64_e64 v[84:85], v[62:63], -v[54:55]
	v_add_f64_e32 v[24:25], v[103:104], v[40:41]
	v_add_f64_e32 v[26:27], v[147:148], v[36:37]
	;; [unrolled: 1-line block ×3, first 2 shown]
	v_fma_f64 v[76:77], v[139:140], v[94:95], v[0:1]
	v_add_f64_e32 v[0:1], v[36:37], v[42:43]
	v_fma_f64 v[74:75], v[116:117], v[98:99], v[18:19]
	v_fma_f64 v[2:3], v[2:3], -0.5, v[151:152]
	v_add_f64_e32 v[14:15], v[48:49], v[50:51]
	v_fma_f64 v[12:13], v[12:13], -0.5, v[103:104]
	v_add_f64_e64 v[90:91], v[70:71], -v[72:73]
	v_add_f64_e32 v[20:21], v[20:21], v[38:39]
	v_add_f64_e32 v[22:23], v[22:23], v[34:35]
	s_wait_alu 0xf1ff
	v_cndmask_b32_e64 v104, 0, 0x480, s0
	v_cmp_gt_u32_e64 s0, 32, v128
	v_add_f64_e32 v[16:17], v[16:17], v[56:57]
	v_add_f64_e64 v[18:19], v[64:65], -v[32:33]
	v_fma_f64 v[8:9], v[8:9], -0.5, v[86:87]
	v_add_f64_e64 v[82:83], v[60:61], -v[52:53]
	v_add_f64_e64 v[86:87], v[66:67], -v[68:69]
	v_add_f64_e32 v[24:25], v[24:25], v[46:47]
	v_add_f64_e32 v[26:27], v[26:27], v[42:43]
	;; [unrolled: 1-line block ×3, first 2 shown]
	v_lshlrev_b32_e32 v81, 3, v162
	v_fma_f64 v[0:1], v[0:1], -0.5, v[147:148]
	v_add_f64_e64 v[94:95], v[76:77], -v[74:75]
	v_fma_f64 v[100:101], v[84:85], s[2:3], v[2:3]
	v_fma_f64 v[14:15], v[14:15], -0.5, v[149:150]
	v_fma_f64 v[2:3], v[84:85], s[6:7], v[2:3]
	v_add3_u32 v85, 0, v104, v111
	v_mul_u32_u24_e32 v80, 0x480, v127
	v_lshlrev_b32_e32 v104, 3, v166
	v_add_nc_u32_e32 v84, 0x400, v121
	v_fma_f64 v[98:99], v[18:19], s[2:3], v[8:9]
	v_fma_f64 v[8:9], v[18:19], s[6:7], v[8:9]
	;; [unrolled: 1-line block ×6, first 2 shown]
	v_lshlrev_b32_e32 v82, 3, v163
	v_lshlrev_b32_e32 v83, 3, v164
	;; [unrolled: 1-line block ×3, first 2 shown]
	v_fma_f64 v[118:119], v[90:91], s[2:3], v[0:1]
	v_fma_f64 v[90:91], v[90:91], s[6:7], v[0:1]
	v_and_b32_e32 v0, 0xffff, v158
	v_fma_f64 v[96:97], v[94:95], s[2:3], v[14:15]
	v_fma_f64 v[94:95], v[94:95], s[6:7], v[14:15]
	v_and_b32_e32 v1, 0xffff, v159
	v_and_b32_e32 v14, 0xffff, v160
	v_mul_u32_u24_e32 v0, 0x480, v0
	v_mul_u32_u24_e32 v15, 0x480, v161
	s_delay_alu instid0(VALU_DEP_4) | instskip(NEXT) | instid1(VALU_DEP_4)
	v_mul_u32_u24_e32 v1, 0x480, v1
	v_mul_u32_u24_e32 v14, 0x480, v14
	s_delay_alu instid0(VALU_DEP_4) | instskip(NEXT) | instid1(VALU_DEP_4)
	v_add3_u32 v123, 0, v0, v81
	v_add3_u32 v87, 0, v15, v86
	;; [unrolled: 1-line block ×5, first 2 shown]
	ds_load_b64 v[82:83], v109
	ds_load_b64 v[80:81], v110
	global_wb scope:SCOPE_SE
	s_wait_dscnt 0x0
	s_barrier_signal -1
	s_barrier_wait -1
	global_inv scope:SCOPE_SE
	ds_store_2addr_b64 v85, v[16:17], v[98:99] offset1:48
	ds_store_b64 v85, v[8:9] offset:768
	ds_store_2addr_b64 v123, v[20:21], v[18:19] offset1:48
	ds_store_b64 v123, v[10:11] offset:768
	;; [unrolled: 2-line block ×6, first 2 shown]
	global_wb scope:SCOPE_SE
	s_wait_dscnt 0x0
	s_barrier_signal -1
	s_barrier_wait -1
	global_inv scope:SCOPE_SE
	ds_load_b64 v[118:119], v108
	ds_load_b64 v[124:125], v121 offset:7360
	ds_load_2addr_b64 v[0:3], v121 offset1:144
	ds_load_2addr_b64 v[24:27], v84 offset0:72 offset1:160
	ds_load_2addr_b64 v[16:19], v122 offset0:88 offset1:176
	;; [unrolled: 1-line block ×5, first 2 shown]
	v_sub_nc_u32_e32 v98, 0, v107
                                        ; implicit-def: $vgpr102_vgpr103
                                        ; implicit-def: $vgpr100_vgpr101
	s_delay_alu instid0(VALU_DEP_1)
	v_add_nc_u32_e32 v132, v105, v98
                                        ; implicit-def: $vgpr98_vgpr99
	s_and_saveexec_b32 s1, s0
	s_cbranch_execz .LBB0_15
; %bb.14:
	ds_load_b64 v[96:97], v121 offset:3200
	ds_load_b64 v[98:99], v121 offset:5504
	;; [unrolled: 1-line block ×5, first 2 shown]
	ds_load_b64 v[90:91], v132
	ds_load_b64 v[102:103], v121 offset:7808
.LBB0_15:
	s_wait_alu 0xfffe
	s_or_b32 exec_lo, exec_lo, s1
	v_add_f64_e32 v[104:105], v[64:65], v[32:33]
	v_add_f64_e32 v[106:107], v[60:61], v[52:53]
	v_add_f64_e32 v[108:109], v[62:63], v[54:55]
	v_add_f64_e32 v[110:111], v[66:67], v[68:69]
	v_add_f64_e32 v[133:134], v[70:71], v[72:73]
	v_add_f64_e32 v[135:136], v[76:77], v[74:75]
	v_add_f64_e32 v[64:65], v[44:45], v[64:65]
	v_add_f64_e64 v[56:57], v[58:59], -v[56:57]
	v_add_f64_e32 v[58:59], v[6:7], v[60:61]
	v_add_f64_e64 v[30:31], v[30:31], -v[38:39]
	v_add_f64_e32 v[60:61], v[78:79], v[62:63]
	;; [unrolled: 2-line block ×5, first 2 shown]
	v_add_f64_e64 v[46:47], v[48:49], -v[50:51]
	global_wb scope:SCOPE_SE
	s_wait_dscnt 0x0
	s_barrier_signal -1
	s_barrier_wait -1
	global_inv scope:SCOPE_SE
	v_fma_f64 v[44:45], v[104:105], -0.5, v[44:45]
	v_fma_f64 v[6:7], v[106:107], -0.5, v[6:7]
	;; [unrolled: 1-line block ×6, first 2 shown]
	v_add_f64_e32 v[32:33], v[64:65], v[32:33]
	v_add_f64_e32 v[48:49], v[58:59], v[52:53]
	;; [unrolled: 1-line block ×3, first 2 shown]
	v_add_nc_u32_e32 v60, v112, v126
	v_add_f64_e32 v[52:53], v[62:63], v[68:69]
	v_add_f64_e32 v[54:55], v[66:67], v[72:73]
	;; [unrolled: 1-line block ×3, first 2 shown]
	v_fma_f64 v[58:59], v[56:57], s[6:7], v[44:45]
	v_fma_f64 v[44:45], v[56:57], s[2:3], v[44:45]
	;; [unrolled: 1-line block ×12, first 2 shown]
	ds_store_2addr_b64 v85, v[32:33], v[58:59] offset1:48
	ds_store_b64 v85, v[44:45] offset:768
	ds_store_2addr_b64 v123, v[48:49], v[56:57] offset1:48
	ds_store_b64 v123, v[6:7] offset:768
	;; [unrolled: 2-line block ×6, first 2 shown]
	global_wb scope:SCOPE_SE
	s_wait_dscnt 0x0
	s_barrier_signal -1
	s_barrier_wait -1
	global_inv scope:SCOPE_SE
	ds_load_2addr_b64 v[4:7], v121 offset1:144
	ds_load_2addr_b64 v[44:47], v84 offset0:72 offset1:160
	ds_load_2addr_b64 v[36:39], v122 offset0:88 offset1:176
	;; [unrolled: 1-line block ×5, first 2 shown]
	ds_load_b64 v[122:123], v60
	ds_load_b64 v[126:127], v121 offset:7360
                                        ; implicit-def: $vgpr116_vgpr117
                                        ; implicit-def: $vgpr114_vgpr115
                                        ; implicit-def: $vgpr112_vgpr113
	s_and_saveexec_b32 s1, s0
	s_cbranch_execz .LBB0_17
; %bb.16:
	ds_load_b64 v[110:111], v121 offset:3200
	ds_load_b64 v[112:113], v121 offset:5504
	;; [unrolled: 1-line block ×5, first 2 shown]
	ds_load_b64 v[104:105], v132
	ds_load_b64 v[116:117], v121 offset:7808
.LBB0_17:
	s_wait_alu 0xfffe
	s_or_b32 exec_lo, exec_lo, s1
	s_and_saveexec_b32 s1, vcc_lo
	s_cbranch_execz .LBB0_20
; %bb.18:
	v_mul_u32_u24_e32 v48, 6, v128
	v_mul_i32_i24_e32 v120, 6, v120
	v_mad_co_u64_u32 v[139:140], null, s8, v128, 0
	v_add_nc_u32_e32 v175, 0x398, v128
	s_delay_alu instid0(VALU_DEP_4)
	v_dual_mov_b32 v121, 0 :: v_dual_lshlrev_b32 v50, 4, v48
	v_add_nc_u32_e32 v165, 0x120, v128
	v_mad_co_u64_u32 v[145:146], null, s8, v130, 0
	global_load_b128 v[64:67], v50, s[4:5] offset:2288
	v_lshlrev_b64_e32 v[48:49], 4, v[120:121]
	s_clause 0x1
	global_load_b128 v[131:134], v50, s[4:5] offset:2352
	global_load_b128 v[84:87], v50, s[4:5] offset:2272
	v_add_nc_u32_e32 v120, 0x90, v128
	v_or_b32_e32 v167, 0x240, v128
	s_mov_b32 s14, 0xe976ee23
	s_mov_b32 s26, 0x36b3c0b5
	v_add_co_u32 v48, vcc_lo, s4, v48
	s_wait_alu 0xfffd
	v_add_co_ci_u32_e32 v49, vcc_lo, s5, v49, vcc_lo
	s_mov_b32 s15, 0xbfe11646
	s_clause 0x8
	global_load_b128 v[135:138], v50, s[4:5] offset:2336
	global_load_b128 v[80:83], v[48:49], off offset:2272
	global_load_b128 v[68:71], v[48:49], off offset:2336
	;; [unrolled: 1-line block ×4, first 2 shown]
	global_load_b128 v[60:63], v50, s[4:5] offset:2304
	global_load_b128 v[56:59], v50, s[4:5] offset:2320
	global_load_b128 v[52:55], v[48:49], off offset:2304
	global_load_b128 v[48:51], v[48:49], off offset:2320
	s_mov_b32 s16, 0x37e14327
	s_mov_b32 s27, 0x3fac98ee
	;; [unrolled: 1-line block ×13, first 2 shown]
	s_wait_alu 0xfffe
	s_mov_b32 s22, s6
	s_mov_b32 s18, s20
	;; [unrolled: 1-line block ×4, first 2 shown]
	s_wait_loadcnt_dscnt 0xb06
	v_mul_f64_e32 v[141:142], v[46:47], v[66:67]
	s_wait_loadcnt_dscnt 0xa02
	v_mul_f64_e32 v[147:148], v[42:43], v[133:134]
	v_mul_f64_e32 v[133:134], v[22:23], v[133:134]
	v_mul_f64_e32 v[143:144], v[26:27], v[66:67]
	s_wait_loadcnt 0x9
	v_mul_f64_e32 v[149:150], v[6:7], v[86:87]
	v_mul_f64_e32 v[86:87], v[2:3], v[86:87]
	s_wait_loadcnt 0x8
	v_mul_f64_e32 v[151:152], v[34:35], v[137:138]
	v_mul_f64_e32 v[137:138], v[14:15], v[137:138]
	;; [unrolled: 3-line block ×3, first 2 shown]
	s_wait_loadcnt 0x6
	v_mul_f64_e32 v[157:158], v[20:21], v[70:71]
	s_wait_loadcnt 0x5
	v_mul_f64_e32 v[161:162], v[124:125], v[78:79]
	;; [unrolled: 2-line block ×3, first 2 shown]
	v_mul_f64_e32 v[70:71], v[40:41], v[70:71]
	s_wait_dscnt 0x0
	v_mul_f64_e32 v[78:79], v[126:127], v[78:79]
	v_mul_f64_e32 v[74:75], v[36:37], v[74:75]
	v_add_co_u32 v66, vcc_lo, s10, v88
	s_wait_alu 0xfffd
	v_add_co_ci_u32_e32 v67, vcc_lo, s11, v89, vcc_lo
	v_fma_f64 v[26:27], v[26:27], v[64:65], -v[141:142]
	v_fma_f64 v[22:23], v[22:23], v[131:132], -v[147:148]
	v_fma_f64 v[42:43], v[42:43], v[131:132], v[133:134]
	s_wait_loadcnt 0x3
	v_mul_f64_e32 v[131:132], v[38:39], v[62:63]
	v_mul_f64_e32 v[62:63], v[18:19], v[62:63]
	v_fma_f64 v[46:47], v[46:47], v[64:65], v[143:144]
	s_wait_loadcnt 0x2
	v_mul_f64_e32 v[133:134], v[30:31], v[58:59]
	v_fma_f64 v[2:3], v[2:3], v[84:85], -v[149:150]
	v_fma_f64 v[6:7], v[6:7], v[84:85], v[86:87]
	v_mul_f64_e32 v[58:59], v[10:11], v[58:59]
	v_fma_f64 v[14:15], v[14:15], v[135:136], -v[151:152]
	v_fma_f64 v[34:35], v[34:35], v[135:136], v[137:138]
	v_fma_f64 v[24:25], v[24:25], v[80:81], -v[153:154]
	s_wait_loadcnt 0x1
	v_mul_f64_e32 v[137:138], v[28:29], v[54:55]
	v_fma_f64 v[44:45], v[44:45], v[80:81], v[82:83]
	s_wait_loadcnt 0x0
	v_mul_f64_e32 v[80:81], v[32:33], v[50:51]
	v_mul_f64_e32 v[54:55], v[8:9], v[54:55]
	v_mul_f64_e32 v[50:51], v[12:13], v[50:51]
	v_fma_f64 v[40:41], v[40:41], v[68:69], v[157:158]
	v_fma_f64 v[126:127], v[126:127], v[76:77], v[161:162]
	;; [unrolled: 1-line block ×3, first 2 shown]
	v_fma_f64 v[20:21], v[20:21], v[68:69], -v[70:71]
	v_fma_f64 v[68:69], v[124:125], v[76:77], -v[78:79]
	;; [unrolled: 1-line block ×3, first 2 shown]
	v_mov_b32_e32 v75, v146
	v_mad_co_u64_u32 v[73:74], null, s8, v175, 0
	v_mov_b32_e32 v72, v140
	v_mad_co_u64_u32 v[155:156], null, s8, v165, 0
	v_add_nc_u32_e32 v166, 0x1b0, v128
	v_mad_co_u64_u32 v[88:89], null, s8, v120, 0
	s_delay_alu instid0(VALU_DEP_4)
	v_mad_co_u64_u32 v[76:77], null, s9, v128, v[72:73]
	v_mad_co_u64_u32 v[64:65], null, s8, v167, 0
	v_mov_b32_e32 v77, v156
	v_mad_co_u64_u32 v[159:160], null, s8, v166, 0
	v_dual_mov_b32 v72, v89 :: v_dual_add_nc_u32 v169, 0x360, v128
	v_fma_f64 v[18:19], v[18:19], v[60:61], -v[131:132]
	v_fma_f64 v[38:39], v[38:39], v[60:61], v[62:63]
	v_mad_co_u64_u32 v[60:61], null, s9, v130, v[75:76]
	v_fma_f64 v[10:11], v[10:11], v[56:57], -v[133:134]
	v_fma_f64 v[30:31], v[30:31], v[56:57], v[58:59]
	v_add_f64_e32 v[61:62], v[6:7], v[42:43]
	v_add_f64_e32 v[78:79], v[46:47], v[34:35]
	;; [unrolled: 1-line block ×4, first 2 shown]
	v_fma_f64 v[8:9], v[8:9], v[52:53], -v[137:138]
	v_fma_f64 v[12:13], v[12:13], v[48:49], -v[80:81]
	v_fma_f64 v[28:29], v[28:29], v[52:53], v[54:55]
	v_fma_f64 v[32:33], v[32:33], v[48:49], v[50:51]
	v_dual_mov_b32 v57, v65 :: v_dual_add_nc_u32 v168, 0x2d0, v128
	v_add_f64_e32 v[53:54], v[44:45], v[126:127]
	v_add_f64_e32 v[80:81], v[36:37], v[40:41]
	;; [unrolled: 1-line block ×4, first 2 shown]
	v_dual_mov_b32 v56, v160 :: v_dual_add_nc_u32 v171, 0x158, v128
	v_mad_co_u64_u32 v[84:85], null, s8, v169, 0
	v_mad_co_u64_u32 v[141:142], null, s8, v168, 0
	s_delay_alu instid0(VALU_DEP_3) | instskip(SKIP_4) | instid1(VALU_DEP_4)
	v_mad_co_u64_u32 v[135:136], null, s8, v171, 0
	v_add_nc_u32_e32 v170, 0xc8, v128
	v_add_nc_u32_e32 v172, 0x1e8, v128
	;; [unrolled: 1-line block ×3, first 2 shown]
	v_dual_mov_b32 v59, v85 :: v_dual_mov_b32 v58, v142
	v_mad_co_u64_u32 v[86:87], null, s8, v170, 0
	s_delay_alu instid0(VALU_DEP_3)
	v_mad_co_u64_u32 v[143:144], null, s8, v173, 0
	v_mov_b32_e32 v49, v136
	v_mad_co_u64_u32 v[82:83], null, s8, v172, 0
	v_add_f64_e64 v[14:15], v[26:27], -v[14:15]
	v_mov_b32_e32 v48, v87
	v_add_f64_e64 v[26:27], v[10:11], -v[18:19]
	v_add_f64_e32 v[10:11], v[10:11], v[18:19]
	v_add_f64_e32 v[18:19], v[30:31], v[38:39]
	v_add_f64_e64 v[30:31], v[30:31], -v[38:39]
	v_add_f64_e64 v[34:35], v[46:47], -v[34:35]
	;; [unrolled: 1-line block ×3, first 2 shown]
	v_add_f64_e32 v[42:43], v[61:62], v[78:79]
	v_add_f64_e32 v[46:47], v[124:125], v[130:131]
	v_dual_mov_b32 v51, v144 :: v_dual_add_nc_u32 v174, 0x308, v128
	v_dual_mov_b32 v50, v83 :: v_dual_mov_b32 v55, v74
	v_add_f64_e64 v[22:23], v[2:3], -v[22:23]
	v_mad_co_u64_u32 v[6:7], null, s9, v170, v[48:49]
	v_add_f64_e64 v[16:17], v[16:17], -v[20:21]
	v_add_f64_e64 v[20:21], v[12:13], -v[8:9]
	v_add_f64_e32 v[7:8], v[12:13], v[8:9]
	v_add_f64_e32 v[12:13], v[32:33], v[28:29]
	v_add_f64_e64 v[28:29], v[32:33], -v[28:29]
	v_add_f64_e64 v[32:33], v[36:37], -v[40:41]
	v_mad_co_u64_u32 v[40:41], null, s9, v171, v[49:50]
	v_mad_co_u64_u32 v[48:49], null, s9, v172, v[50:51]
	v_add_f64_e64 v[36:37], v[44:45], -v[126:127]
	v_add_f64_e32 v[44:45], v[53:54], v[80:81]
	v_add_f64_e32 v[49:50], v[132:133], v[137:138]
	v_add_f64_e64 v[24:25], v[24:25], -v[68:69]
	v_mad_co_u64_u32 v[70:71], null, s8, v174, 0
	v_mad_co_u64_u32 v[147:148], null, s9, v166, v[56:57]
	;; [unrolled: 1-line block ×3, first 2 shown]
	v_mov_b32_e32 v140, v76
	v_mad_co_u64_u32 v[57:58], null, s9, v168, v[58:59]
	v_mov_b32_e32 v52, v71
	v_mad_co_u64_u32 v[71:72], null, s9, v120, v[72:73]
	v_mad_co_u64_u32 v[74:75], null, s9, v165, v[77:78]
	;; [unrolled: 1-line block ×4, first 2 shown]
	s_delay_alu instid0(VALU_DEP_4) | instskip(SKIP_1) | instid1(VALU_DEP_4)
	v_mov_b32_e32 v89, v71
	v_mad_co_u64_u32 v[58:59], null, s9, v173, v[51:52]
	v_dual_mov_b32 v146, v60 :: v_dual_mov_b32 v85, v2
	v_dual_mov_b32 v160, v147 :: v_dual_mov_b32 v83, v48
	v_add_f64_e64 v[75:76], v[26:27], -v[14:15]
	v_add_f64_e64 v[126:127], v[18:19], -v[78:79]
	v_add_f64_e64 v[147:148], v[30:31], -v[34:35]
	v_mov_b32_e32 v65, v56
	v_lshlrev_b64_e32 v[59:60], 4, v[139:140]
	v_add_f64_e64 v[139:140], v[10:11], -v[130:131]
	v_add_f64_e64 v[55:56], v[61:62], -v[18:19]
	;; [unrolled: 1-line block ×3, first 2 shown]
	v_add_f64_e32 v[18:19], v[18:19], v[42:43]
	v_add_f64_e32 v[9:10], v[10:11], v[46:47]
	v_add_f64_e64 v[149:150], v[14:15], -v[22:23]
	v_add_f64_e64 v[151:152], v[34:35], -v[38:39]
	v_lshlrev_b64_e32 v[41:42], 4, v[145:146]
	v_add_f64_e64 v[46:47], v[20:21], -v[16:17]
	v_add_f64_e64 v[145:146], v[12:13], -v[80:81]
	;; [unrolled: 1-line block ×4, first 2 shown]
	v_add_f64_e32 v[43:44], v[12:13], v[44:45]
	v_add_f64_e64 v[11:12], v[53:54], -v[12:13]
	v_add_f64_e32 v[48:49], v[7:8], v[49:50]
	v_add_f64_e64 v[163:164], v[16:17], -v[24:25]
	v_add_f64_e64 v[165:166], v[32:33], -v[36:37]
	;; [unrolled: 1-line block ×3, first 2 shown]
	v_mad_co_u64_u32 v[51:52], null, s9, v174, v[52:53]
	v_dual_mov_b32 v156, v74 :: v_dual_mov_b32 v87, v6
	v_mov_b32_e32 v142, v57
	v_mov_b32_e32 v74, v68
	v_add_f64_e64 v[68:69], v[22:23], -v[26:27]
	v_add_f64_e32 v[13:14], v[26:27], v[14:15]
	v_mov_b32_e32 v71, v51
	v_lshlrev_b64_e32 v[50:51], 4, v[88:89]
	v_add_f64_e64 v[26:27], v[38:39], -v[30:31]
	v_add_f64_e32 v[30:31], v[30:31], v[34:35]
	v_add_f64_e32 v[15:16], v[20:21], v[16:17]
	;; [unrolled: 1-line block ×3, first 2 shown]
	v_add_f64_e64 v[61:62], v[78:79], -v[61:62]
	v_mul_f64_e32 v[34:35], s[14:15], v[75:76]
	v_mul_f64_e32 v[75:76], s[26:27], v[126:127]
	;; [unrolled: 1-line block ×3, first 2 shown]
	v_add_f64_e64 v[77:78], v[130:131], -v[124:125]
	v_mov_b32_e32 v144, v58
	v_mul_f64_e32 v[88:89], s[26:27], v[139:140]
	v_mul_f64_e32 v[124:125], s[16:17], v[55:56]
	;; [unrolled: 1-line block ×3, first 2 shown]
	v_add_f64_e32 v[2:3], v[4:5], v[18:19]
	v_add_f64_e32 v[0:1], v[0:1], v[9:10]
	v_mul_f64_e32 v[139:140], s[24:25], v[149:150]
	v_mul_f64_e32 v[147:148], s[24:25], v[151:152]
	v_lshlrev_b64_e32 v[57:58], 4, v[155:156]
	v_add_f64_e64 v[20:21], v[24:25], -v[20:21]
	v_add_f64_e64 v[28:29], v[36:37], -v[28:29]
	v_mul_f64_e32 v[45:46], s[14:15], v[46:47]
	v_mul_f64_e32 v[145:146], s[26:27], v[145:146]
	v_mul_f64_e32 v[155:156], s[26:27], v[157:158]
	v_mul_f64_e32 v[157:158], s[14:15], v[161:162]
	v_add_f64_e64 v[52:53], v[80:81], -v[53:54]
	v_add_f64_e32 v[6:7], v[122:123], v[43:44]
	v_mul_f64_e32 v[79:80], s[16:17], v[11:12]
	v_add_f64_e32 v[4:5], v[118:119], v[48:49]
	v_mul_f64_e32 v[161:162], s[24:25], v[163:164]
	v_mul_f64_e32 v[169:170], s[24:25], v[165:166]
	v_add_f64_e64 v[122:123], v[137:138], -v[132:133]
	v_mul_f64_e32 v[118:119], s[16:17], v[167:168]
	v_add_co_u32 v59, vcc_lo, v66, v59
	s_wait_alu 0xfffd
	v_add_co_ci_u32_e32 v60, vcc_lo, v67, v60, vcc_lo
	v_add_f64_e32 v[13:14], v[22:23], v[13:14]
	v_lshlrev_b64_e32 v[132:133], 4, v[141:142]
	v_mov_b32_e32 v136, v40
	v_add_f64_e32 v[22:23], v[38:39], v[30:31]
	v_add_f64_e32 v[15:16], v[24:25], v[15:16]
	;; [unrolled: 1-line block ×3, first 2 shown]
	v_lshlrev_b64_e32 v[72:73], 4, v[73:74]
	v_fma_f64 v[30:31], v[68:69], s[6:7], v[34:35]
	v_fma_f64 v[32:33], v[55:56], s[16:17], v[75:76]
	;; [unrolled: 1-line block ×3, first 2 shown]
	v_fma_f64 v[34:35], v[149:150], s[24:25], -v[34:35]
	v_lshlrev_b64_e32 v[134:135], 4, v[135:136]
	v_fma_f64 v[36:37], v[153:154], s[16:17], v[88:89]
	v_fma_f64 v[124:125], v[61:62], s[20:21], -v[124:125]
	v_fma_f64 v[61:62], v[61:62], s[18:19], -v[75:76]
	v_fma_f64 v[17:18], v[18:19], s[12:13], v[2:3]
	v_fma_f64 v[8:9], v[9:10], s[12:13], v[0:1]
	s_wait_alu 0xfffe
	v_fma_f64 v[54:55], v[68:69], s[22:23], -v[139:140]
	v_fma_f64 v[26:27], v[26:27], s[22:23], -v[147:148]
	;; [unrolled: 1-line block ×5, first 2 shown]
	v_fma_f64 v[77:78], v[20:21], s[6:7], v[45:46]
	v_fma_f64 v[10:11], v[11:12], s[16:17], v[145:146]
	;; [unrolled: 1-line block ×4, first 2 shown]
	v_fma_f64 v[45:46], v[163:164], s[24:25], -v[45:46]
	v_fma_f64 v[138:139], v[165:166], s[24:25], -v[157:158]
	v_fma_f64 v[43:44], v[43:44], s[12:13], v[6:7]
	v_fma_f64 v[79:80], v[52:53], s[20:21], -v[79:80]
	v_fma_f64 v[52:53], v[52:53], s[18:19], -v[145:146]
	v_fma_f64 v[47:48], v[48:49], s[12:13], v[4:5]
	v_fma_f64 v[19:20], v[20:21], s[22:23], -v[161:162]
	v_fma_f64 v[28:29], v[28:29], s[22:23], -v[169:170]
	;; [unrolled: 1-line block ×4, first 2 shown]
	v_add_co_u32 v140, vcc_lo, v66, v41
	s_wait_alu 0xfffd
	v_add_co_ci_u32_e32 v141, vcc_lo, v67, v42, vcc_lo
	v_add_co_u32 v142, vcc_lo, v66, v50
	v_lshlrev_b64_e32 v[136:137], 4, v[143:144]
	s_wait_alu 0xfffd
	v_add_co_ci_u32_e32 v143, vcc_lo, v67, v51, vcc_lo
	v_fma_f64 v[30:31], v[13:14], s[2:3], v[30:31]
	v_lshlrev_b64_e32 v[159:160], 4, v[159:160]
	v_fma_f64 v[38:39], v[22:23], s[2:3], v[38:39]
	v_lshlrev_b64_e32 v[63:64], 4, v[64:65]
	v_add_co_u32 v56, vcc_lo, v66, v57
	s_wait_alu 0xfffd
	v_add_co_ci_u32_e32 v57, vcc_lo, v67, v58, vcc_lo
	v_add_f64_e32 v[32:33], v[32:33], v[17:18]
	v_add_f64_e32 v[36:37], v[36:37], v[8:9]
	v_fma_f64 v[40:41], v[13:14], s[2:3], v[54:55]
	v_fma_f64 v[49:50], v[22:23], s[2:3], v[26:27]
	;; [unrolled: 1-line block ×4, first 2 shown]
	v_add_f64_e32 v[54:55], v[124:125], v[17:18]
	v_add_f64_e32 v[68:69], v[126:127], v[8:9]
	;; [unrolled: 1-line block ×4, first 2 shown]
	v_fma_f64 v[74:75], v[15:16], s[2:3], v[77:78]
	v_fma_f64 v[76:77], v[24:25], s[2:3], v[130:131]
	;; [unrolled: 1-line block ×4, first 2 shown]
	v_add_f64_e32 v[138:139], v[10:11], v[43:44]
	v_add_f64_e32 v[51:52], v[52:53], v[43:44]
	;; [unrolled: 1-line block ×3, first 2 shown]
	v_fma_f64 v[124:125], v[15:16], s[2:3], v[19:20]
	v_fma_f64 v[126:127], v[24:25], s[2:3], v[28:29]
	v_add_f64_e32 v[78:79], v[79:80], v[43:44]
	v_add_f64_e32 v[118:119], v[118:119], v[47:48]
	;; [unrolled: 1-line block ×3, first 2 shown]
	v_add_co_u32 v144, vcc_lo, v66, v159
	s_wait_alu 0xfffd
	v_add_co_ci_u32_e32 v145, vcc_lo, v67, v160, vcc_lo
	v_lshlrev_b64_e32 v[84:85], 4, v[84:85]
	v_add_co_u32 v63, vcc_lo, v66, v63
	s_wait_alu 0xfffd
	v_add_co_ci_u32_e32 v64, vcc_lo, v67, v64, vcc_lo
	v_lshlrev_b64_e32 v[86:87], 4, v[86:87]
	;; [unrolled: 4-line block ×3, first 2 shown]
	v_add_co_u32 v83, vcc_lo, v66, v84
	v_add_f64_e32 v[10:11], v[30:31], v[32:33]
	v_add_f64_e64 v[30:31], v[32:33], -v[30:31]
	v_add_f64_e32 v[28:29], v[38:39], v[36:37]
	v_add_f64_e64 v[8:9], v[36:37], -v[38:39]
	s_wait_alu 0xfffd
	v_add_co_ci_u32_e32 v84, vcc_lo, v67, v85, vcc_lo
	v_add_f64_e32 v[24:25], v[49:50], v[68:69]
	v_add_f64_e64 v[18:19], v[21:22], -v[26:27]
	v_add_f64_e32 v[22:23], v[26:27], v[21:22]
	v_add_f64_e64 v[26:27], v[54:55], -v[40:41]
	v_add_f64_e64 v[20:21], v[61:62], -v[34:35]
	v_add_f64_e32 v[16:17], v[34:35], v[61:62]
	v_add_f64_e32 v[14:15], v[40:41], v[54:55]
	v_add_f64_e64 v[12:13], v[68:69], -v[49:50]
	v_add_f64_e64 v[42:43], v[51:52], -v[45:46]
	v_add_f64_e32 v[46:47], v[45:46], v[51:52]
	v_add_f64_e64 v[54:55], v[138:139], -v[74:75]
	v_add_f64_e32 v[52:53], v[76:77], v[88:89]
	v_add_f64_e64 v[50:51], v[78:79], -v[124:125]
	v_add_f64_e32 v[48:49], v[126:127], v[118:119]
	v_add_f64_e64 v[44:45], v[122:123], -v[130:131]
	v_add_f64_e32 v[40:41], v[130:131], v[122:123]
	v_add_f64_e32 v[38:39], v[124:125], v[78:79]
	v_add_f64_e64 v[36:37], v[118:119], -v[126:127]
	v_add_f64_e32 v[34:35], v[74:75], v[138:139]
	v_add_f64_e64 v[32:33], v[88:89], -v[76:77]
	v_add_co_u32 v61, vcc_lo, v66, v86
	s_wait_alu 0xfffd
	v_add_co_ci_u32_e32 v62, vcc_lo, v67, v87, vcc_lo
	v_add_co_u32 v68, vcc_lo, v66, v134
	s_wait_alu 0xfffd
	v_add_co_ci_u32_e32 v69, vcc_lo, v67, v135, vcc_lo
	v_lshlrev_b64_e32 v[70:71], 4, v[70:71]
	v_add_co_u32 v74, vcc_lo, v66, v81
	s_wait_alu 0xfffd
	v_add_co_ci_u32_e32 v75, vcc_lo, v67, v82, vcc_lo
	v_add_co_u32 v76, vcc_lo, v66, v136
	s_wait_alu 0xfffd
	v_add_co_ci_u32_e32 v77, vcc_lo, v67, v137, vcc_lo
	;; [unrolled: 3-line block ×4, first 2 shown]
	s_clause 0xd
	global_store_b128 v[59:60], v[0:3], off
	global_store_b128 v[142:143], v[28:31], off
	;; [unrolled: 1-line block ×14, first 2 shown]
	s_and_b32 exec_lo, exec_lo, s0
	s_cbranch_execz .LBB0_20
; %bb.19:
	v_subrev_nc_u32_e32 v0, 32, v128
	v_add_nc_u32_e32 v68, 0x3d0, v128
	v_or_b32_e32 v61, 0x100, v128
	v_or_b32_e32 v63, 0x220, v128
	v_or_b32_e32 v65, 0x340, v128
	v_cndmask_b32_e64 v0, v0, v129, s0
	v_mad_co_u64_u32 v[48:49], null, s8, v68, 0
	v_add_nc_u32_e32 v64, 0x2b0, v128
	s_delay_alu instid0(VALU_DEP_3) | instskip(NEXT) | instid1(VALU_DEP_1)
	v_mul_i32_i24_e32 v120, 6, v0
	v_lshlrev_b64_e32 v[0:1], 4, v[120:121]
	s_delay_alu instid0(VALU_DEP_1) | instskip(SKIP_1) | instid1(VALU_DEP_2)
	v_add_co_u32 v20, vcc_lo, s4, v0
	s_wait_alu 0xfffd
	v_add_co_ci_u32_e32 v21, vcc_lo, s5, v1, vcc_lo
	s_clause 0x5
	global_load_b128 v[0:3], v[20:21], off offset:2272
	global_load_b128 v[4:7], v[20:21], off offset:2288
	;; [unrolled: 1-line block ×6, first 2 shown]
	s_wait_loadcnt 0x5
	v_mul_f64_e32 v[24:25], v[106:107], v[2:3]
	v_mul_f64_e32 v[2:3], v[92:93], v[2:3]
	s_wait_loadcnt 0x4
	v_mul_f64_e32 v[26:27], v[110:111], v[6:7]
	v_mul_f64_e32 v[6:7], v[96:97], v[6:7]
	;; [unrolled: 3-line block ×6, first 2 shown]
	v_fma_f64 v[24:25], v[92:93], v[0:1], -v[24:25]
	v_fma_f64 v[0:1], v[106:107], v[0:1], v[2:3]
	v_fma_f64 v[2:3], v[96:97], v[4:5], -v[26:27]
	v_fma_f64 v[4:5], v[110:111], v[4:5], v[6:7]
	;; [unrolled: 2-line block ×6, first 2 shown]
	v_add_f64_e32 v[22:23], v[24:25], v[6:7]
	v_add_f64_e32 v[26:27], v[0:1], v[8:9]
	v_add_f64_e32 v[28:29], v[2:3], v[10:11]
	v_add_f64_e32 v[30:31], v[4:5], v[12:13]
	v_add_f64_e64 v[2:3], v[2:3], -v[10:11]
	v_add_f64_e64 v[4:5], v[4:5], -v[12:13]
	v_add_f64_e32 v[10:11], v[14:15], v[18:19]
	v_add_f64_e32 v[12:13], v[16:17], v[20:21]
	v_add_f64_e64 v[14:15], v[18:19], -v[14:15]
	v_add_f64_e64 v[8:9], v[0:1], -v[8:9]
	;; [unrolled: 1-line block ×4, first 2 shown]
	v_add_f64_e32 v[0:1], v[28:29], v[22:23]
	v_add_f64_e32 v[18:19], v[30:31], v[26:27]
	v_add_f64_e64 v[20:21], v[22:23], -v[10:11]
	v_add_f64_e64 v[24:25], v[26:27], -v[12:13]
	;; [unrolled: 1-line block ×6, first 2 shown]
	v_add_f64_e32 v[42:43], v[14:15], v[2:3]
	v_add_f64_e32 v[4:5], v[16:17], v[4:5]
	v_add_f64_e64 v[14:15], v[6:7], -v[14:15]
	v_add_f64_e64 v[16:17], v[8:9], -v[16:17]
	;; [unrolled: 1-line block ×4, first 2 shown]
	v_add_f64_e32 v[40:41], v[10:11], v[0:1]
	v_add_f64_e32 v[18:19], v[12:13], v[18:19]
	v_add_f64_e64 v[10:11], v[10:11], -v[28:29]
	v_add_f64_e64 v[12:13], v[12:13], -v[30:31]
	v_mul_f64_e32 v[20:21], s[16:17], v[20:21]
	v_mul_f64_e32 v[24:25], s[16:17], v[24:25]
	;; [unrolled: 1-line block ×6, first 2 shown]
	v_add_f64_e32 v[6:7], v[42:43], v[6:7]
	v_add_f64_e32 v[4:5], v[4:5], v[8:9]
	;; [unrolled: 1-line block ×4, first 2 shown]
	v_mul_f64_e32 v[28:29], s[26:27], v[10:11]
	v_mul_f64_e32 v[30:31], s[26:27], v[12:13]
	v_fma_f64 v[8:9], v[10:11], s[26:27], v[20:21]
	v_fma_f64 v[10:11], v[12:13], s[26:27], v[24:25]
	;; [unrolled: 1-line block ×3, first 2 shown]
	v_fma_f64 v[32:33], v[36:37], s[24:25], -v[32:33]
	v_fma_f64 v[14:15], v[14:15], s[22:23], -v[44:45]
	v_fma_f64 v[42:43], v[16:17], s[6:7], v[34:35]
	v_fma_f64 v[16:17], v[16:17], s[22:23], -v[46:47]
	v_fma_f64 v[20:21], v[22:23], s[20:21], -v[20:21]
	;; [unrolled: 1-line block ×4, first 2 shown]
	v_mad_co_u64_u32 v[46:47], null, s8, v65, 0
	v_fma_f64 v[36:37], v[40:41], s[12:13], v[0:1]
	v_fma_f64 v[18:19], v[18:19], s[12:13], v[2:3]
	v_fma_f64 v[22:23], v[22:23], s[18:19], -v[28:29]
	v_fma_f64 v[26:27], v[26:27], s[18:19], -v[30:31]
	v_mad_co_u64_u32 v[30:31], null, s8, v61, 0
	v_fma_f64 v[50:51], v[6:7], s[2:3], v[12:13]
	v_fma_f64 v[32:33], v[6:7], s[2:3], v[32:33]
	;; [unrolled: 1-line block ×3, first 2 shown]
	v_mad_co_u64_u32 v[40:41], null, s8, v63, 0
	v_fma_f64 v[42:43], v[4:5], s[2:3], v[42:43]
	v_fma_f64 v[54:55], v[4:5], s[2:3], v[16:17]
	;; [unrolled: 1-line block ×3, first 2 shown]
	v_mov_b32_e32 v4, v31
	v_mov_b32_e32 v6, v41
	v_add_f64_e32 v[56:57], v[8:9], v[36:37]
	v_mov_b32_e32 v9, v49
	v_mad_co_u64_u32 v[44:45], null, s8, v64, 0
	v_add_nc_u32_e32 v62, 0x190, v128
	v_add_f64_e32 v[58:59], v[10:11], v[18:19]
	v_add_f64_e32 v[20:21], v[20:21], v[36:37]
	;; [unrolled: 1-line block ×5, first 2 shown]
	v_mov_b32_e32 v7, v45
	v_mad_co_u64_u32 v[38:39], null, s8, v62, 0
	s_delay_alu instid0(VALU_DEP_1) | instskip(NEXT) | instid1(VALU_DEP_1)
	v_dual_mov_b32 v5, v39 :: v_dual_add_nc_u32 v60, 0x70, v128
	v_mad_co_u64_u32 v[28:29], null, s8, v60, 0
	s_delay_alu instid0(VALU_DEP_1) | instskip(NEXT) | instid1(VALU_DEP_3)
	v_mad_co_u64_u32 v[10:11], null, s9, v60, v[29:30]
	v_mad_co_u64_u32 v[11:12], null, s9, v61, v[4:5]
	;; [unrolled: 1-line block ×3, first 2 shown]
	s_delay_alu instid0(VALU_DEP_3) | instskip(NEXT) | instid1(VALU_DEP_3)
	v_mov_b32_e32 v29, v10
	v_mov_b32_e32 v31, v11
	s_delay_alu instid0(VALU_DEP_3)
	v_mov_b32_e32 v39, v4
	v_mad_co_u64_u32 v[5:6], null, s9, v63, v[6:7]
	v_mov_b32_e32 v8, v47
	v_add_f64_e32 v[26:27], v[50:51], v[58:59]
	v_add_f64_e32 v[22:23], v[52:53], v[24:25]
	v_add_f64_e64 v[12:13], v[16:17], -v[34:35]
	v_add_f64_e32 v[14:15], v[32:33], v[18:19]
	v_add_f64_e32 v[16:17], v[34:35], v[16:17]
	v_mov_b32_e32 v41, v5
	v_mad_co_u64_u32 v[6:7], null, s9, v64, v[7:8]
	v_mad_co_u64_u32 v[7:8], null, s9, v65, v[8:9]
	;; [unrolled: 1-line block ×3, first 2 shown]
	v_add_f64_e32 v[4:5], v[42:43], v[56:57]
	v_add_f64_e64 v[10:11], v[24:25], -v[52:53]
	v_mov_b32_e32 v45, v6
	v_add_f64_e64 v[18:19], v[18:19], -v[32:33]
	v_mov_b32_e32 v47, v7
	;; [unrolled: 2-line block ×3, first 2 shown]
	v_add_f64_e32 v[8:9], v[54:55], v[20:21]
	v_add_f64_e64 v[20:21], v[20:21], -v[54:55]
	v_add_f64_e64 v[24:25], v[56:57], -v[42:43]
	v_lshlrev_b64_e32 v[28:29], 4, v[28:29]
	v_lshlrev_b64_e32 v[30:31], 4, v[30:31]
	v_lshlrev_b64_e32 v[36:37], 4, v[38:39]
	v_lshlrev_b64_e32 v[38:39], 4, v[40:41]
	v_lshlrev_b64_e32 v[32:33], 4, v[44:45]
	v_lshlrev_b64_e32 v[34:35], 4, v[46:47]
	v_add_co_u32 v28, vcc_lo, v66, v28
	s_wait_alu 0xfffd
	v_add_co_ci_u32_e32 v29, vcc_lo, v67, v29, vcc_lo
	v_add_co_u32 v30, vcc_lo, v66, v30
	s_wait_alu 0xfffd
	v_add_co_ci_u32_e32 v31, vcc_lo, v67, v31, vcc_lo
	;; [unrolled: 3-line block ×4, first 2 shown]
	v_lshlrev_b64_e32 v[40:41], 4, v[48:49]
	v_add_co_u32 v32, vcc_lo, v66, v32
	s_wait_alu 0xfffd
	v_add_co_ci_u32_e32 v33, vcc_lo, v67, v33, vcc_lo
	v_add_co_u32 v34, vcc_lo, v66, v34
	s_wait_alu 0xfffd
	v_add_co_ci_u32_e32 v35, vcc_lo, v67, v35, vcc_lo
	;; [unrolled: 3-line block ×3, first 2 shown]
	s_clause 0x6
	global_store_b128 v[28:29], v[0:3], off
	global_store_b128 v[30:31], v[4:7], off
	;; [unrolled: 1-line block ×7, first 2 shown]
.LBB0_20:
	s_nop 0
	s_sendmsg sendmsg(MSG_DEALLOC_VGPRS)
	s_endpgm
	.section	.rodata,"a",@progbits
	.p2align	6, 0x0
	.amdhsa_kernel fft_rtc_fwd_len1008_factors_2_2_2_2_3_3_7_wgs_56_tpt_56_halfLds_dp_ip_CI_sbrr_dirReg
		.amdhsa_group_segment_fixed_size 0
		.amdhsa_private_segment_fixed_size 0
		.amdhsa_kernarg_size 88
		.amdhsa_user_sgpr_count 2
		.amdhsa_user_sgpr_dispatch_ptr 0
		.amdhsa_user_sgpr_queue_ptr 0
		.amdhsa_user_sgpr_kernarg_segment_ptr 1
		.amdhsa_user_sgpr_dispatch_id 0
		.amdhsa_user_sgpr_private_segment_size 0
		.amdhsa_wavefront_size32 1
		.amdhsa_uses_dynamic_stack 0
		.amdhsa_enable_private_segment 0
		.amdhsa_system_sgpr_workgroup_id_x 1
		.amdhsa_system_sgpr_workgroup_id_y 0
		.amdhsa_system_sgpr_workgroup_id_z 0
		.amdhsa_system_sgpr_workgroup_info 0
		.amdhsa_system_vgpr_workitem_id 0
		.amdhsa_next_free_vgpr 176
		.amdhsa_next_free_sgpr 35
		.amdhsa_reserve_vcc 1
		.amdhsa_float_round_mode_32 0
		.amdhsa_float_round_mode_16_64 0
		.amdhsa_float_denorm_mode_32 3
		.amdhsa_float_denorm_mode_16_64 3
		.amdhsa_fp16_overflow 0
		.amdhsa_workgroup_processor_mode 1
		.amdhsa_memory_ordered 1
		.amdhsa_forward_progress 0
		.amdhsa_round_robin_scheduling 0
		.amdhsa_exception_fp_ieee_invalid_op 0
		.amdhsa_exception_fp_denorm_src 0
		.amdhsa_exception_fp_ieee_div_zero 0
		.amdhsa_exception_fp_ieee_overflow 0
		.amdhsa_exception_fp_ieee_underflow 0
		.amdhsa_exception_fp_ieee_inexact 0
		.amdhsa_exception_int_div_zero 0
	.end_amdhsa_kernel
	.text
.Lfunc_end0:
	.size	fft_rtc_fwd_len1008_factors_2_2_2_2_3_3_7_wgs_56_tpt_56_halfLds_dp_ip_CI_sbrr_dirReg, .Lfunc_end0-fft_rtc_fwd_len1008_factors_2_2_2_2_3_3_7_wgs_56_tpt_56_halfLds_dp_ip_CI_sbrr_dirReg
                                        ; -- End function
	.section	.AMDGPU.csdata,"",@progbits
; Kernel info:
; codeLenInByte = 15144
; NumSgprs: 37
; NumVgprs: 176
; ScratchSize: 0
; MemoryBound: 1
; FloatMode: 240
; IeeeMode: 1
; LDSByteSize: 0 bytes/workgroup (compile time only)
; SGPRBlocks: 4
; VGPRBlocks: 21
; NumSGPRsForWavesPerEU: 37
; NumVGPRsForWavesPerEU: 176
; Occupancy: 8
; WaveLimiterHint : 1
; COMPUTE_PGM_RSRC2:SCRATCH_EN: 0
; COMPUTE_PGM_RSRC2:USER_SGPR: 2
; COMPUTE_PGM_RSRC2:TRAP_HANDLER: 0
; COMPUTE_PGM_RSRC2:TGID_X_EN: 1
; COMPUTE_PGM_RSRC2:TGID_Y_EN: 0
; COMPUTE_PGM_RSRC2:TGID_Z_EN: 0
; COMPUTE_PGM_RSRC2:TIDIG_COMP_CNT: 0
	.text
	.p2alignl 7, 3214868480
	.fill 96, 4, 3214868480
	.type	__hip_cuid_5e02c30cfc75a40e,@object ; @__hip_cuid_5e02c30cfc75a40e
	.section	.bss,"aw",@nobits
	.globl	__hip_cuid_5e02c30cfc75a40e
__hip_cuid_5e02c30cfc75a40e:
	.byte	0                               ; 0x0
	.size	__hip_cuid_5e02c30cfc75a40e, 1

	.ident	"AMD clang version 19.0.0git (https://github.com/RadeonOpenCompute/llvm-project roc-6.4.0 25133 c7fe45cf4b819c5991fe208aaa96edf142730f1d)"
	.section	".note.GNU-stack","",@progbits
	.addrsig
	.addrsig_sym __hip_cuid_5e02c30cfc75a40e
	.amdgpu_metadata
---
amdhsa.kernels:
  - .args:
      - .actual_access:  read_only
        .address_space:  global
        .offset:         0
        .size:           8
        .value_kind:     global_buffer
      - .offset:         8
        .size:           8
        .value_kind:     by_value
      - .actual_access:  read_only
        .address_space:  global
        .offset:         16
        .size:           8
        .value_kind:     global_buffer
      - .actual_access:  read_only
        .address_space:  global
        .offset:         24
        .size:           8
        .value_kind:     global_buffer
      - .offset:         32
        .size:           8
        .value_kind:     by_value
      - .actual_access:  read_only
        .address_space:  global
        .offset:         40
        .size:           8
        .value_kind:     global_buffer
      - .actual_access:  read_only
        .address_space:  global
        .offset:         48
        .size:           8
        .value_kind:     global_buffer
      - .offset:         56
        .size:           4
        .value_kind:     by_value
      - .actual_access:  read_only
        .address_space:  global
        .offset:         64
        .size:           8
        .value_kind:     global_buffer
      - .actual_access:  read_only
        .address_space:  global
        .offset:         72
        .size:           8
        .value_kind:     global_buffer
      - .address_space:  global
        .offset:         80
        .size:           8
        .value_kind:     global_buffer
    .group_segment_fixed_size: 0
    .kernarg_segment_align: 8
    .kernarg_segment_size: 88
    .language:       OpenCL C
    .language_version:
      - 2
      - 0
    .max_flat_workgroup_size: 56
    .name:           fft_rtc_fwd_len1008_factors_2_2_2_2_3_3_7_wgs_56_tpt_56_halfLds_dp_ip_CI_sbrr_dirReg
    .private_segment_fixed_size: 0
    .sgpr_count:     37
    .sgpr_spill_count: 0
    .symbol:         fft_rtc_fwd_len1008_factors_2_2_2_2_3_3_7_wgs_56_tpt_56_halfLds_dp_ip_CI_sbrr_dirReg.kd
    .uniform_work_group_size: 1
    .uses_dynamic_stack: false
    .vgpr_count:     176
    .vgpr_spill_count: 0
    .wavefront_size: 32
    .workgroup_processor_mode: 1
amdhsa.target:   amdgcn-amd-amdhsa--gfx1201
amdhsa.version:
  - 1
  - 2
...

	.end_amdgpu_metadata
